;; amdgpu-corpus repo=ROCm/rocSPARSE kind=compiled arch=gfx906 opt=O3
	.amdgcn_target "amdgcn-amd-amdhsa--gfx906"
	.amdhsa_code_object_version 6
	.section	.text._ZN9rocsparseL12gemvi_kernelILj1024ELj32EifEEvT1_S1_NS_24const_host_device_scalarIT2_EEPKS3_lS1_S6_PKS1_S4_PS3_21rocsparse_index_base_b,"axG",@progbits,_ZN9rocsparseL12gemvi_kernelILj1024ELj32EifEEvT1_S1_NS_24const_host_device_scalarIT2_EEPKS3_lS1_S6_PKS1_S4_PS3_21rocsparse_index_base_b,comdat
	.globl	_ZN9rocsparseL12gemvi_kernelILj1024ELj32EifEEvT1_S1_NS_24const_host_device_scalarIT2_EEPKS3_lS1_S6_PKS1_S4_PS3_21rocsparse_index_base_b ; -- Begin function _ZN9rocsparseL12gemvi_kernelILj1024ELj32EifEEvT1_S1_NS_24const_host_device_scalarIT2_EEPKS3_lS1_S6_PKS1_S4_PS3_21rocsparse_index_base_b
	.p2align	8
	.type	_ZN9rocsparseL12gemvi_kernelILj1024ELj32EifEEvT1_S1_NS_24const_host_device_scalarIT2_EEPKS3_lS1_S6_PKS1_S4_PS3_21rocsparse_index_base_b,@function
_ZN9rocsparseL12gemvi_kernelILj1024ELj32EifEEvT1_S1_NS_24const_host_device_scalarIT2_EEPKS3_lS1_S6_PKS1_S4_PS3_21rocsparse_index_base_b: ; @_ZN9rocsparseL12gemvi_kernelILj1024ELj32EifEEvT1_S1_NS_24const_host_device_scalarIT2_EEPKS3_lS1_S6_PKS1_S4_PS3_21rocsparse_index_base_b
; %bb.0:
	s_load_dwordx2 s[16:17], s[4:5], 0x48
	s_load_dwordx2 s[12:13], s[4:5], 0x8
	;; [unrolled: 1-line block ×3, first 2 shown]
	s_waitcnt lgkmcnt(0)
	s_bitcmp1_b32 s17, 0
	s_cselect_b64 s[2:3], -1, 0
	s_xor_b64 s[0:1], s[2:3], -1
	s_and_b64 vcc, exec, s[2:3]
	s_cbranch_vccnz .LBB0_2
; %bb.1:
	s_load_dword s12, s[12:13], 0x0
.LBB0_2:
	s_andn2_b64 vcc, exec, s[0:1]
	s_cbranch_vccnz .LBB0_4
; %bb.3:
	s_load_dword s14, s[14:15], 0x0
.LBB0_4:
	s_waitcnt lgkmcnt(0)
	v_cmp_neq_f32_e64 s[0:1], s12, 0
	v_cmp_neq_f32_e64 s[2:3], s14, 1.0
	s_or_b64 s[0:1], s[0:1], s[2:3]
	s_andn2_b64 vcc, exec, s[0:1]
	s_cbranch_vccnz .LBB0_25
; %bb.5:
	s_load_dword s2, s[4:5], 0x0
	v_and_b32_e32 v6, 31, v0
	v_lshl_or_b32 v1, s6, 5, v6
	v_mov_b32_e32 v7, 0
	s_waitcnt lgkmcnt(0)
	v_cmp_le_i32_e64 s[0:1], s2, v1
	v_cmp_gt_i32_e32 vcc, s2, v1
	s_and_saveexec_b64 s[6:7], vcc
	s_cbranch_execz .LBB0_11
; %bb.6:
	s_load_dword s13, s[4:5], 0x20
	v_lshrrev_b32_e32 v8, 5, v0
	v_mov_b32_e32 v7, 0
	s_waitcnt lgkmcnt(0)
	v_cmp_gt_i32_e32 vcc, s13, v8
	s_and_saveexec_b64 s[18:19], vcc
	s_cbranch_execz .LBB0_10
; %bb.7:
	s_load_dwordx4 s[8:11], s[4:5], 0x10
	s_load_dwordx4 s[20:23], s[4:5], 0x28
	v_ashrrev_i32_e32 v2, 31, v1
	v_lshlrev_b64 v[2:3], 2, v[1:2]
	v_mov_b32_e32 v7, 0
	s_waitcnt lgkmcnt(0)
	v_mov_b32_e32 v4, s9
	v_add_co_u32_e32 v9, vcc, s8, v2
	v_lshrrev_b32_e32 v2, 3, v0
	v_addc_co_u32_e32 v10, vcc, v4, v3, vcc
	v_and_b32_e32 v4, 0x7c, v2
	v_mov_b32_e32 v3, s21
	v_add_co_u32_e32 v2, vcc, s20, v4
	v_addc_co_u32_e32 v3, vcc, 0, v3, vcc
	v_mov_b32_e32 v5, s23
	v_add_co_u32_e32 v4, vcc, s22, v4
	v_addc_co_u32_e32 v5, vcc, 0, v5, vcc
	s_mov_b64 s[8:9], 0
.LBB0_8:                                ; =>This Inner Loop Header: Depth=1
	global_load_dword v11, v[4:5], off
	global_load_dword v15, v[2:3], off
	v_add_u32_e32 v8, 32, v8
	s_waitcnt vmcnt(1)
	v_subrev_u32_e32 v11, s16, v11
	v_ashrrev_i32_e32 v13, 31, v11
	v_mul_lo_u32 v14, s11, v11
	v_mad_u64_u32 v[11:12], s[2:3], s10, v11, 0
	v_mul_lo_u32 v13, s10, v13
	v_cmp_le_i32_e64 s[2:3], s13, v8
	s_or_b64 s[8:9], s[2:3], s[8:9]
	v_add3_u32 v12, v12, v13, v14
	v_lshlrev_b64 v[11:12], 2, v[11:12]
	v_add_co_u32_e32 v11, vcc, v9, v11
	v_addc_co_u32_e32 v12, vcc, v10, v12, vcc
	global_load_dword v11, v[11:12], off
	v_add_co_u32_e32 v2, vcc, 0x80, v2
	v_addc_co_u32_e32 v3, vcc, 0, v3, vcc
	v_add_co_u32_e32 v4, vcc, 0x80, v4
	v_addc_co_u32_e32 v5, vcc, 0, v5, vcc
	s_waitcnt vmcnt(0)
	v_fmac_f32_e32 v7, v15, v11
	s_andn2_b64 exec, exec, s[8:9]
	s_cbranch_execnz .LBB0_8
; %bb.9:
	s_or_b64 exec, exec, s[8:9]
.LBB0_10:
	s_or_b64 exec, exec, s[18:19]
.LBB0_11:
	s_or_b64 exec, exec, s[6:7]
	s_movk_i32 s2, 0x200
	v_lshlrev_b32_e32 v2, 2, v0
	v_cmp_gt_u32_e32 vcc, s2, v0
	ds_write_b32 v2, v7
	s_waitcnt lgkmcnt(0)
	s_barrier
	s_and_saveexec_b64 s[2:3], vcc
	s_cbranch_execz .LBB0_13
; %bb.12:
	ds_read2st64_b32 v[3:4], v2 offset1:8
	s_waitcnt lgkmcnt(0)
	v_add_f32_e32 v3, v4, v3
	ds_write_b32 v2, v3
.LBB0_13:
	s_or_b64 exec, exec, s[2:3]
	s_movk_i32 s2, 0x100
	v_cmp_gt_u32_e32 vcc, s2, v0
	s_waitcnt lgkmcnt(0)
	s_barrier
	s_and_saveexec_b64 s[2:3], vcc
	s_cbranch_execz .LBB0_15
; %bb.14:
	ds_read2st64_b32 v[3:4], v2 offset1:4
	s_waitcnt lgkmcnt(0)
	v_add_f32_e32 v3, v4, v3
	ds_write_b32 v2, v3
.LBB0_15:
	s_or_b64 exec, exec, s[2:3]
	s_movk_i32 s2, 0x80
	v_cmp_gt_u32_e32 vcc, s2, v0
	s_waitcnt lgkmcnt(0)
	s_barrier
	s_and_saveexec_b64 s[2:3], vcc
	s_cbranch_execz .LBB0_17
; %bb.16:
	ds_read2st64_b32 v[3:4], v2 offset1:2
	s_waitcnt lgkmcnt(0)
	v_add_f32_e32 v3, v4, v3
	ds_write_b32 v2, v3
.LBB0_17:
	s_or_b64 exec, exec, s[2:3]
	v_cmp_gt_u32_e32 vcc, 64, v0
	s_waitcnt lgkmcnt(0)
	s_barrier
	s_and_saveexec_b64 s[2:3], vcc
	s_cbranch_execz .LBB0_19
; %bb.18:
	ds_read2st64_b32 v[3:4], v2 offset1:1
	s_waitcnt lgkmcnt(0)
	v_add_f32_e32 v3, v4, v3
	ds_write_b32 v2, v3
.LBB0_19:
	s_or_b64 exec, exec, s[2:3]
	v_cmp_lt_u32_e32 vcc, 31, v0
	v_cmp_gt_u32_e64 s[2:3], 32, v0
	v_lshlrev_b32_e32 v0, 2, v6
	s_waitcnt lgkmcnt(0)
	s_barrier
	s_and_saveexec_b64 s[6:7], s[2:3]
	s_cbranch_execz .LBB0_21
; %bb.20:
	ds_read_b32 v3, v0 offset:128
	ds_read_b32 v4, v2
	s_waitcnt lgkmcnt(0)
	v_add_f32_e32 v3, v3, v4
	ds_write_b32 v2, v3
.LBB0_21:
	s_or_b64 exec, exec, s[6:7]
	s_nor_b64 s[0:1], vcc, s[0:1]
	s_and_saveexec_b64 s[2:3], s[0:1]
	s_cbranch_execz .LBB0_25
; %bb.22:
	s_load_dwordx2 s[0:1], s[4:5], 0x40
	ds_read_b32 v0, v0
	v_cmp_eq_f32_e64 s[2:3], s14, 0
	s_and_b64 vcc, exec, s[2:3]
	v_ashrrev_i32_e32 v2, 31, v1
	s_cbranch_vccz .LBB0_26
; %bb.23:
	v_lshlrev_b64 v[3:4], 2, v[1:2]
	s_waitcnt lgkmcnt(0)
	v_mov_b32_e32 v6, s1
	v_add_co_u32_e32 v3, vcc, s0, v3
	v_mul_f32_e32 v5, s12, v0
	v_addc_co_u32_e32 v4, vcc, v6, v4, vcc
	global_store_dword v[3:4], v5, off
	s_cbranch_execnz .LBB0_25
.LBB0_24:
	v_lshlrev_b64 v[1:2], 2, v[1:2]
	s_waitcnt lgkmcnt(0)
	v_mov_b32_e32 v3, s1
	v_add_co_u32_e32 v1, vcc, s0, v1
	v_addc_co_u32_e32 v2, vcc, v3, v2, vcc
	global_load_dword v3, v[1:2], off
	s_waitcnt vmcnt(0)
	v_mul_f32_e32 v3, s14, v3
	v_fmac_f32_e32 v3, s12, v0
	global_store_dword v[1:2], v3, off
.LBB0_25:
	s_endpgm
.LBB0_26:
	s_branch .LBB0_24
	.section	.rodata,"a",@progbits
	.p2align	6, 0x0
	.amdhsa_kernel _ZN9rocsparseL12gemvi_kernelILj1024ELj32EifEEvT1_S1_NS_24const_host_device_scalarIT2_EEPKS3_lS1_S6_PKS1_S4_PS3_21rocsparse_index_base_b
		.amdhsa_group_segment_fixed_size 4096
		.amdhsa_private_segment_fixed_size 0
		.amdhsa_kernarg_size 80
		.amdhsa_user_sgpr_count 6
		.amdhsa_user_sgpr_private_segment_buffer 1
		.amdhsa_user_sgpr_dispatch_ptr 0
		.amdhsa_user_sgpr_queue_ptr 0
		.amdhsa_user_sgpr_kernarg_segment_ptr 1
		.amdhsa_user_sgpr_dispatch_id 0
		.amdhsa_user_sgpr_flat_scratch_init 0
		.amdhsa_user_sgpr_private_segment_size 0
		.amdhsa_uses_dynamic_stack 0
		.amdhsa_system_sgpr_private_segment_wavefront_offset 0
		.amdhsa_system_sgpr_workgroup_id_x 1
		.amdhsa_system_sgpr_workgroup_id_y 0
		.amdhsa_system_sgpr_workgroup_id_z 0
		.amdhsa_system_sgpr_workgroup_info 0
		.amdhsa_system_vgpr_workitem_id 0
		.amdhsa_next_free_vgpr 29
		.amdhsa_next_free_sgpr 61
		.amdhsa_reserve_vcc 1
		.amdhsa_reserve_flat_scratch 0
		.amdhsa_float_round_mode_32 0
		.amdhsa_float_round_mode_16_64 0
		.amdhsa_float_denorm_mode_32 3
		.amdhsa_float_denorm_mode_16_64 3
		.amdhsa_dx10_clamp 1
		.amdhsa_ieee_mode 1
		.amdhsa_fp16_overflow 0
		.amdhsa_exception_fp_ieee_invalid_op 0
		.amdhsa_exception_fp_denorm_src 0
		.amdhsa_exception_fp_ieee_div_zero 0
		.amdhsa_exception_fp_ieee_overflow 0
		.amdhsa_exception_fp_ieee_underflow 0
		.amdhsa_exception_fp_ieee_inexact 0
		.amdhsa_exception_int_div_zero 0
	.end_amdhsa_kernel
	.section	.text._ZN9rocsparseL12gemvi_kernelILj1024ELj32EifEEvT1_S1_NS_24const_host_device_scalarIT2_EEPKS3_lS1_S6_PKS1_S4_PS3_21rocsparse_index_base_b,"axG",@progbits,_ZN9rocsparseL12gemvi_kernelILj1024ELj32EifEEvT1_S1_NS_24const_host_device_scalarIT2_EEPKS3_lS1_S6_PKS1_S4_PS3_21rocsparse_index_base_b,comdat
.Lfunc_end0:
	.size	_ZN9rocsparseL12gemvi_kernelILj1024ELj32EifEEvT1_S1_NS_24const_host_device_scalarIT2_EEPKS3_lS1_S6_PKS1_S4_PS3_21rocsparse_index_base_b, .Lfunc_end0-_ZN9rocsparseL12gemvi_kernelILj1024ELj32EifEEvT1_S1_NS_24const_host_device_scalarIT2_EEPKS3_lS1_S6_PKS1_S4_PS3_21rocsparse_index_base_b
                                        ; -- End function
	.set _ZN9rocsparseL12gemvi_kernelILj1024ELj32EifEEvT1_S1_NS_24const_host_device_scalarIT2_EEPKS3_lS1_S6_PKS1_S4_PS3_21rocsparse_index_base_b.num_vgpr, 16
	.set _ZN9rocsparseL12gemvi_kernelILj1024ELj32EifEEvT1_S1_NS_24const_host_device_scalarIT2_EEPKS3_lS1_S6_PKS1_S4_PS3_21rocsparse_index_base_b.num_agpr, 0
	.set _ZN9rocsparseL12gemvi_kernelILj1024ELj32EifEEvT1_S1_NS_24const_host_device_scalarIT2_EEPKS3_lS1_S6_PKS1_S4_PS3_21rocsparse_index_base_b.numbered_sgpr, 24
	.set _ZN9rocsparseL12gemvi_kernelILj1024ELj32EifEEvT1_S1_NS_24const_host_device_scalarIT2_EEPKS3_lS1_S6_PKS1_S4_PS3_21rocsparse_index_base_b.num_named_barrier, 0
	.set _ZN9rocsparseL12gemvi_kernelILj1024ELj32EifEEvT1_S1_NS_24const_host_device_scalarIT2_EEPKS3_lS1_S6_PKS1_S4_PS3_21rocsparse_index_base_b.private_seg_size, 0
	.set _ZN9rocsparseL12gemvi_kernelILj1024ELj32EifEEvT1_S1_NS_24const_host_device_scalarIT2_EEPKS3_lS1_S6_PKS1_S4_PS3_21rocsparse_index_base_b.uses_vcc, 1
	.set _ZN9rocsparseL12gemvi_kernelILj1024ELj32EifEEvT1_S1_NS_24const_host_device_scalarIT2_EEPKS3_lS1_S6_PKS1_S4_PS3_21rocsparse_index_base_b.uses_flat_scratch, 0
	.set _ZN9rocsparseL12gemvi_kernelILj1024ELj32EifEEvT1_S1_NS_24const_host_device_scalarIT2_EEPKS3_lS1_S6_PKS1_S4_PS3_21rocsparse_index_base_b.has_dyn_sized_stack, 0
	.set _ZN9rocsparseL12gemvi_kernelILj1024ELj32EifEEvT1_S1_NS_24const_host_device_scalarIT2_EEPKS3_lS1_S6_PKS1_S4_PS3_21rocsparse_index_base_b.has_recursion, 0
	.set _ZN9rocsparseL12gemvi_kernelILj1024ELj32EifEEvT1_S1_NS_24const_host_device_scalarIT2_EEPKS3_lS1_S6_PKS1_S4_PS3_21rocsparse_index_base_b.has_indirect_call, 0
	.section	.AMDGPU.csdata,"",@progbits
; Kernel info:
; codeLenInByte = 856
; TotalNumSgprs: 28
; NumVgprs: 16
; ScratchSize: 0
; MemoryBound: 0
; FloatMode: 240
; IeeeMode: 1
; LDSByteSize: 4096 bytes/workgroup (compile time only)
; SGPRBlocks: 8
; VGPRBlocks: 7
; NumSGPRsForWavesPerEU: 65
; NumVGPRsForWavesPerEU: 29
; Occupancy: 8
; WaveLimiterHint : 1
; COMPUTE_PGM_RSRC2:SCRATCH_EN: 0
; COMPUTE_PGM_RSRC2:USER_SGPR: 6
; COMPUTE_PGM_RSRC2:TRAP_HANDLER: 0
; COMPUTE_PGM_RSRC2:TGID_X_EN: 1
; COMPUTE_PGM_RSRC2:TGID_Y_EN: 0
; COMPUTE_PGM_RSRC2:TGID_Z_EN: 0
; COMPUTE_PGM_RSRC2:TIDIG_COMP_CNT: 0
	.section	.text._ZN9rocsparseL12gemvi_kernelILj1024ELj64EifEEvT1_S1_NS_24const_host_device_scalarIT2_EEPKS3_lS1_S6_PKS1_S4_PS3_21rocsparse_index_base_b,"axG",@progbits,_ZN9rocsparseL12gemvi_kernelILj1024ELj64EifEEvT1_S1_NS_24const_host_device_scalarIT2_EEPKS3_lS1_S6_PKS1_S4_PS3_21rocsparse_index_base_b,comdat
	.globl	_ZN9rocsparseL12gemvi_kernelILj1024ELj64EifEEvT1_S1_NS_24const_host_device_scalarIT2_EEPKS3_lS1_S6_PKS1_S4_PS3_21rocsparse_index_base_b ; -- Begin function _ZN9rocsparseL12gemvi_kernelILj1024ELj64EifEEvT1_S1_NS_24const_host_device_scalarIT2_EEPKS3_lS1_S6_PKS1_S4_PS3_21rocsparse_index_base_b
	.p2align	8
	.type	_ZN9rocsparseL12gemvi_kernelILj1024ELj64EifEEvT1_S1_NS_24const_host_device_scalarIT2_EEPKS3_lS1_S6_PKS1_S4_PS3_21rocsparse_index_base_b,@function
_ZN9rocsparseL12gemvi_kernelILj1024ELj64EifEEvT1_S1_NS_24const_host_device_scalarIT2_EEPKS3_lS1_S6_PKS1_S4_PS3_21rocsparse_index_base_b: ; @_ZN9rocsparseL12gemvi_kernelILj1024ELj64EifEEvT1_S1_NS_24const_host_device_scalarIT2_EEPKS3_lS1_S6_PKS1_S4_PS3_21rocsparse_index_base_b
; %bb.0:
	s_load_dwordx2 s[12:13], s[4:5], 0x48
	s_load_dwordx2 s[8:9], s[4:5], 0x8
	;; [unrolled: 1-line block ×3, first 2 shown]
	s_waitcnt lgkmcnt(0)
	s_bitcmp1_b32 s13, 0
	s_cselect_b64 s[2:3], -1, 0
	s_xor_b64 s[0:1], s[2:3], -1
	s_and_b64 vcc, exec, s[2:3]
	s_cbranch_vccnz .LBB1_2
; %bb.1:
	s_load_dword s8, s[8:9], 0x0
.LBB1_2:
	s_andn2_b64 vcc, exec, s[0:1]
	s_cbranch_vccnz .LBB1_4
; %bb.3:
	s_load_dword s10, s[10:11], 0x0
.LBB1_4:
	s_waitcnt lgkmcnt(0)
	v_cmp_neq_f32_e64 s[0:1], s8, 0
	v_cmp_neq_f32_e64 s[2:3], s10, 1.0
	s_or_b64 s[0:1], s[0:1], s[2:3]
	s_andn2_b64 vcc, exec, s[0:1]
	s_cbranch_vccnz .LBB1_23
; %bb.5:
	s_load_dword s0, s[4:5], 0x0
	v_and_b32_e32 v6, 63, v0
	v_lshl_or_b32 v1, s6, 6, v6
	v_mov_b32_e32 v7, 0
	s_waitcnt lgkmcnt(0)
	v_cmp_le_i32_e32 vcc, s0, v1
	v_cmp_gt_i32_e64 s[0:1], s0, v1
	s_and_saveexec_b64 s[6:7], s[0:1]
	s_cbranch_execz .LBB1_11
; %bb.6:
	s_load_dword s9, s[4:5], 0x20
	v_lshrrev_b32_e32 v8, 6, v0
	v_mov_b32_e32 v7, 0
	s_waitcnt lgkmcnt(0)
	v_cmp_gt_i32_e64 s[0:1], s9, v8
	s_and_saveexec_b64 s[14:15], s[0:1]
	s_cbranch_execz .LBB1_10
; %bb.7:
	s_load_dwordx4 s[0:3], s[4:5], 0x10
	s_load_dwordx4 s[16:19], s[4:5], 0x28
	v_ashrrev_i32_e32 v2, 31, v1
	v_lshlrev_b64 v[2:3], 2, v[1:2]
	v_mov_b32_e32 v7, 0
	s_waitcnt lgkmcnt(0)
	v_mov_b32_e32 v4, s1
	v_add_co_u32_e64 v9, s[0:1], s0, v2
	v_lshrrev_b32_e32 v2, 4, v0
	v_addc_co_u32_e64 v10, s[0:1], v4, v3, s[0:1]
	v_and_b32_e32 v4, 60, v2
	v_mov_b32_e32 v3, s17
	v_add_co_u32_e64 v2, s[0:1], s16, v4
	v_addc_co_u32_e64 v3, s[0:1], 0, v3, s[0:1]
	v_mov_b32_e32 v5, s19
	v_add_co_u32_e64 v4, s[0:1], s18, v4
	v_addc_co_u32_e64 v5, s[0:1], 0, v5, s[0:1]
	s_mov_b64 s[16:17], 0
.LBB1_8:                                ; =>This Inner Loop Header: Depth=1
	global_load_dword v11, v[4:5], off
	global_load_dword v15, v[2:3], off
	v_add_u32_e32 v8, 16, v8
	s_waitcnt vmcnt(1)
	v_subrev_u32_e32 v11, s12, v11
	v_ashrrev_i32_e32 v13, 31, v11
	v_mul_lo_u32 v14, s3, v11
	v_mad_u64_u32 v[11:12], s[0:1], s2, v11, 0
	v_mul_lo_u32 v13, s2, v13
	v_add3_u32 v12, v12, v13, v14
	v_lshlrev_b64 v[11:12], 2, v[11:12]
	v_add_co_u32_e64 v11, s[0:1], v9, v11
	v_addc_co_u32_e64 v12, s[0:1], v10, v12, s[0:1]
	global_load_dword v11, v[11:12], off
	v_add_co_u32_e64 v2, s[0:1], 64, v2
	v_addc_co_u32_e64 v3, s[0:1], 0, v3, s[0:1]
	v_add_co_u32_e64 v4, s[0:1], 64, v4
	v_addc_co_u32_e64 v5, s[0:1], 0, v5, s[0:1]
	v_cmp_le_i32_e64 s[0:1], s9, v8
	s_or_b64 s[16:17], s[0:1], s[16:17]
	s_waitcnt vmcnt(0)
	v_fmac_f32_e32 v7, v15, v11
	s_andn2_b64 exec, exec, s[16:17]
	s_cbranch_execnz .LBB1_8
; %bb.9:
	s_or_b64 exec, exec, s[16:17]
.LBB1_10:
	s_or_b64 exec, exec, s[14:15]
.LBB1_11:
	s_or_b64 exec, exec, s[6:7]
	s_movk_i32 s0, 0x200
	v_lshlrev_b32_e32 v2, 2, v0
	v_cmp_gt_u32_e64 s[0:1], s0, v0
	ds_write_b32 v2, v7
	s_waitcnt lgkmcnt(0)
	s_barrier
	s_and_saveexec_b64 s[2:3], s[0:1]
	s_cbranch_execz .LBB1_13
; %bb.12:
	ds_read2st64_b32 v[3:4], v2 offset1:8
	s_waitcnt lgkmcnt(0)
	v_add_f32_e32 v3, v4, v3
	ds_write_b32 v2, v3
.LBB1_13:
	s_or_b64 exec, exec, s[2:3]
	s_movk_i32 s0, 0x100
	v_cmp_gt_u32_e64 s[0:1], s0, v0
	s_waitcnt lgkmcnt(0)
	s_barrier
	s_and_saveexec_b64 s[2:3], s[0:1]
	s_cbranch_execz .LBB1_15
; %bb.14:
	ds_read2st64_b32 v[3:4], v2 offset1:4
	s_waitcnt lgkmcnt(0)
	v_add_f32_e32 v3, v4, v3
	ds_write_b32 v2, v3
.LBB1_15:
	s_or_b64 exec, exec, s[2:3]
	s_movk_i32 s0, 0x80
	v_cmp_gt_u32_e64 s[0:1], s0, v0
	s_waitcnt lgkmcnt(0)
	s_barrier
	s_and_saveexec_b64 s[2:3], s[0:1]
	s_cbranch_execz .LBB1_17
; %bb.16:
	ds_read2st64_b32 v[3:4], v2 offset1:2
	s_waitcnt lgkmcnt(0)
	v_add_f32_e32 v3, v4, v3
	ds_write_b32 v2, v3
.LBB1_17:
	s_or_b64 exec, exec, s[2:3]
	v_cmp_lt_u32_e64 s[0:1], 63, v0
	v_cmp_gt_u32_e64 s[2:3], 64, v0
	v_lshlrev_b32_e32 v0, 2, v6
	s_waitcnt lgkmcnt(0)
	s_barrier
	s_and_saveexec_b64 s[6:7], s[2:3]
	s_cbranch_execz .LBB1_19
; %bb.18:
	ds_read_b32 v3, v0 offset:256
	ds_read_b32 v4, v2
	s_waitcnt lgkmcnt(0)
	v_add_f32_e32 v3, v3, v4
	ds_write_b32 v2, v3
.LBB1_19:
	s_or_b64 exec, exec, s[6:7]
	s_nor_b64 s[0:1], s[0:1], vcc
	s_and_saveexec_b64 s[2:3], s[0:1]
	s_cbranch_execz .LBB1_23
; %bb.20:
	s_load_dwordx2 s[0:1], s[4:5], 0x40
	ds_read_b32 v0, v0
	v_cmp_eq_f32_e64 s[2:3], s10, 0
	s_and_b64 vcc, exec, s[2:3]
	v_ashrrev_i32_e32 v2, 31, v1
	s_cbranch_vccz .LBB1_24
; %bb.21:
	v_lshlrev_b64 v[3:4], 2, v[1:2]
	s_waitcnt lgkmcnt(0)
	v_mov_b32_e32 v6, s1
	v_add_co_u32_e32 v3, vcc, s0, v3
	v_mul_f32_e32 v5, s8, v0
	v_addc_co_u32_e32 v4, vcc, v6, v4, vcc
	global_store_dword v[3:4], v5, off
	s_cbranch_execnz .LBB1_23
.LBB1_22:
	v_lshlrev_b64 v[1:2], 2, v[1:2]
	s_waitcnt lgkmcnt(0)
	v_mov_b32_e32 v3, s1
	v_add_co_u32_e32 v1, vcc, s0, v1
	v_addc_co_u32_e32 v2, vcc, v3, v2, vcc
	global_load_dword v3, v[1:2], off
	s_waitcnt vmcnt(0)
	v_mul_f32_e32 v3, s10, v3
	v_fmac_f32_e32 v3, s8, v0
	global_store_dword v[1:2], v3, off
.LBB1_23:
	s_endpgm
.LBB1_24:
	s_branch .LBB1_22
	.section	.rodata,"a",@progbits
	.p2align	6, 0x0
	.amdhsa_kernel _ZN9rocsparseL12gemvi_kernelILj1024ELj64EifEEvT1_S1_NS_24const_host_device_scalarIT2_EEPKS3_lS1_S6_PKS1_S4_PS3_21rocsparse_index_base_b
		.amdhsa_group_segment_fixed_size 4096
		.amdhsa_private_segment_fixed_size 0
		.amdhsa_kernarg_size 80
		.amdhsa_user_sgpr_count 6
		.amdhsa_user_sgpr_private_segment_buffer 1
		.amdhsa_user_sgpr_dispatch_ptr 0
		.amdhsa_user_sgpr_queue_ptr 0
		.amdhsa_user_sgpr_kernarg_segment_ptr 1
		.amdhsa_user_sgpr_dispatch_id 0
		.amdhsa_user_sgpr_flat_scratch_init 0
		.amdhsa_user_sgpr_private_segment_size 0
		.amdhsa_uses_dynamic_stack 0
		.amdhsa_system_sgpr_private_segment_wavefront_offset 0
		.amdhsa_system_sgpr_workgroup_id_x 1
		.amdhsa_system_sgpr_workgroup_id_y 0
		.amdhsa_system_sgpr_workgroup_id_z 0
		.amdhsa_system_sgpr_workgroup_info 0
		.amdhsa_system_vgpr_workitem_id 0
		.amdhsa_next_free_vgpr 29
		.amdhsa_next_free_sgpr 61
		.amdhsa_reserve_vcc 1
		.amdhsa_reserve_flat_scratch 0
		.amdhsa_float_round_mode_32 0
		.amdhsa_float_round_mode_16_64 0
		.amdhsa_float_denorm_mode_32 3
		.amdhsa_float_denorm_mode_16_64 3
		.amdhsa_dx10_clamp 1
		.amdhsa_ieee_mode 1
		.amdhsa_fp16_overflow 0
		.amdhsa_exception_fp_ieee_invalid_op 0
		.amdhsa_exception_fp_denorm_src 0
		.amdhsa_exception_fp_ieee_div_zero 0
		.amdhsa_exception_fp_ieee_overflow 0
		.amdhsa_exception_fp_ieee_underflow 0
		.amdhsa_exception_fp_ieee_inexact 0
		.amdhsa_exception_int_div_zero 0
	.end_amdhsa_kernel
	.section	.text._ZN9rocsparseL12gemvi_kernelILj1024ELj64EifEEvT1_S1_NS_24const_host_device_scalarIT2_EEPKS3_lS1_S6_PKS1_S4_PS3_21rocsparse_index_base_b,"axG",@progbits,_ZN9rocsparseL12gemvi_kernelILj1024ELj64EifEEvT1_S1_NS_24const_host_device_scalarIT2_EEPKS3_lS1_S6_PKS1_S4_PS3_21rocsparse_index_base_b,comdat
.Lfunc_end1:
	.size	_ZN9rocsparseL12gemvi_kernelILj1024ELj64EifEEvT1_S1_NS_24const_host_device_scalarIT2_EEPKS3_lS1_S6_PKS1_S4_PS3_21rocsparse_index_base_b, .Lfunc_end1-_ZN9rocsparseL12gemvi_kernelILj1024ELj64EifEEvT1_S1_NS_24const_host_device_scalarIT2_EEPKS3_lS1_S6_PKS1_S4_PS3_21rocsparse_index_base_b
                                        ; -- End function
	.set _ZN9rocsparseL12gemvi_kernelILj1024ELj64EifEEvT1_S1_NS_24const_host_device_scalarIT2_EEPKS3_lS1_S6_PKS1_S4_PS3_21rocsparse_index_base_b.num_vgpr, 16
	.set _ZN9rocsparseL12gemvi_kernelILj1024ELj64EifEEvT1_S1_NS_24const_host_device_scalarIT2_EEPKS3_lS1_S6_PKS1_S4_PS3_21rocsparse_index_base_b.num_agpr, 0
	.set _ZN9rocsparseL12gemvi_kernelILj1024ELj64EifEEvT1_S1_NS_24const_host_device_scalarIT2_EEPKS3_lS1_S6_PKS1_S4_PS3_21rocsparse_index_base_b.numbered_sgpr, 20
	.set _ZN9rocsparseL12gemvi_kernelILj1024ELj64EifEEvT1_S1_NS_24const_host_device_scalarIT2_EEPKS3_lS1_S6_PKS1_S4_PS3_21rocsparse_index_base_b.num_named_barrier, 0
	.set _ZN9rocsparseL12gemvi_kernelILj1024ELj64EifEEvT1_S1_NS_24const_host_device_scalarIT2_EEPKS3_lS1_S6_PKS1_S4_PS3_21rocsparse_index_base_b.private_seg_size, 0
	.set _ZN9rocsparseL12gemvi_kernelILj1024ELj64EifEEvT1_S1_NS_24const_host_device_scalarIT2_EEPKS3_lS1_S6_PKS1_S4_PS3_21rocsparse_index_base_b.uses_vcc, 1
	.set _ZN9rocsparseL12gemvi_kernelILj1024ELj64EifEEvT1_S1_NS_24const_host_device_scalarIT2_EEPKS3_lS1_S6_PKS1_S4_PS3_21rocsparse_index_base_b.uses_flat_scratch, 0
	.set _ZN9rocsparseL12gemvi_kernelILj1024ELj64EifEEvT1_S1_NS_24const_host_device_scalarIT2_EEPKS3_lS1_S6_PKS1_S4_PS3_21rocsparse_index_base_b.has_dyn_sized_stack, 0
	.set _ZN9rocsparseL12gemvi_kernelILj1024ELj64EifEEvT1_S1_NS_24const_host_device_scalarIT2_EEPKS3_lS1_S6_PKS1_S4_PS3_21rocsparse_index_base_b.has_recursion, 0
	.set _ZN9rocsparseL12gemvi_kernelILj1024ELj64EifEEvT1_S1_NS_24const_host_device_scalarIT2_EEPKS3_lS1_S6_PKS1_S4_PS3_21rocsparse_index_base_b.has_indirect_call, 0
	.section	.AMDGPU.csdata,"",@progbits
; Kernel info:
; codeLenInByte = 864
; TotalNumSgprs: 24
; NumVgprs: 16
; ScratchSize: 0
; MemoryBound: 0
; FloatMode: 240
; IeeeMode: 1
; LDSByteSize: 4096 bytes/workgroup (compile time only)
; SGPRBlocks: 8
; VGPRBlocks: 7
; NumSGPRsForWavesPerEU: 65
; NumVGPRsForWavesPerEU: 29
; Occupancy: 8
; WaveLimiterHint : 1
; COMPUTE_PGM_RSRC2:SCRATCH_EN: 0
; COMPUTE_PGM_RSRC2:USER_SGPR: 6
; COMPUTE_PGM_RSRC2:TRAP_HANDLER: 0
; COMPUTE_PGM_RSRC2:TGID_X_EN: 1
; COMPUTE_PGM_RSRC2:TGID_Y_EN: 0
; COMPUTE_PGM_RSRC2:TGID_Z_EN: 0
; COMPUTE_PGM_RSRC2:TIDIG_COMP_CNT: 0
	.section	.text._ZN9rocsparseL12gemvi_kernelILj1024ELj32EidEEvT1_S1_NS_24const_host_device_scalarIT2_EEPKS3_lS1_S6_PKS1_S4_PS3_21rocsparse_index_base_b,"axG",@progbits,_ZN9rocsparseL12gemvi_kernelILj1024ELj32EidEEvT1_S1_NS_24const_host_device_scalarIT2_EEPKS3_lS1_S6_PKS1_S4_PS3_21rocsparse_index_base_b,comdat
	.globl	_ZN9rocsparseL12gemvi_kernelILj1024ELj32EidEEvT1_S1_NS_24const_host_device_scalarIT2_EEPKS3_lS1_S6_PKS1_S4_PS3_21rocsparse_index_base_b ; -- Begin function _ZN9rocsparseL12gemvi_kernelILj1024ELj32EidEEvT1_S1_NS_24const_host_device_scalarIT2_EEPKS3_lS1_S6_PKS1_S4_PS3_21rocsparse_index_base_b
	.p2align	8
	.type	_ZN9rocsparseL12gemvi_kernelILj1024ELj32EidEEvT1_S1_NS_24const_host_device_scalarIT2_EEPKS3_lS1_S6_PKS1_S4_PS3_21rocsparse_index_base_b,@function
_ZN9rocsparseL12gemvi_kernelILj1024ELj32EidEEvT1_S1_NS_24const_host_device_scalarIT2_EEPKS3_lS1_S6_PKS1_S4_PS3_21rocsparse_index_base_b: ; @_ZN9rocsparseL12gemvi_kernelILj1024ELj32EidEEvT1_S1_NS_24const_host_device_scalarIT2_EEPKS3_lS1_S6_PKS1_S4_PS3_21rocsparse_index_base_b
; %bb.0:
	s_load_dwordx2 s[12:13], s[4:5], 0x48
	s_load_dwordx2 s[8:9], s[4:5], 0x8
	;; [unrolled: 1-line block ×3, first 2 shown]
	s_waitcnt lgkmcnt(0)
	s_bitcmp1_b32 s13, 0
	s_cselect_b64 s[10:11], -1, 0
	v_mov_b32_e32 v1, s8
	s_xor_b64 s[2:3], s[10:11], -1
	s_and_b64 vcc, exec, s[10:11]
	v_mov_b32_e32 v2, s9
	s_cbranch_vccnz .LBB2_2
; %bb.1:
	v_mov_b32_e32 v1, s8
	v_mov_b32_e32 v2, s9
	flat_load_dwordx2 v[1:2], v[1:2]
.LBB2_2:
	v_mov_b32_e32 v4, s1
	s_andn2_b64 vcc, exec, s[2:3]
	v_mov_b32_e32 v3, s0
	s_cbranch_vccnz .LBB2_4
; %bb.3:
	v_mov_b32_e32 v4, s1
	v_mov_b32_e32 v3, s0
	flat_load_dwordx2 v[3:4], v[3:4]
.LBB2_4:
	s_waitcnt vmcnt(0) lgkmcnt(0)
	v_cmp_neq_f64_e32 vcc, 0, v[1:2]
	v_cmp_neq_f64_e64 s[0:1], 1.0, v[3:4]
	s_or_b64 s[0:1], vcc, s[0:1]
	s_and_saveexec_b64 s[2:3], s[0:1]
	s_cbranch_execz .LBB2_26
; %bb.5:
	s_load_dword s2, s[4:5], 0x0
	v_and_b32_e32 v12, 31, v0
	v_mov_b32_e32 v6, 0
	v_lshl_or_b32 v5, s6, 5, v12
	v_mov_b32_e32 v7, 0
	s_waitcnt lgkmcnt(0)
	v_cmp_le_i32_e64 s[0:1], s2, v5
	v_cmp_gt_i32_e32 vcc, s2, v5
	s_and_saveexec_b64 s[6:7], vcc
	s_cbranch_execz .LBB2_11
; %bb.6:
	s_load_dword s13, s[4:5], 0x20
	v_lshrrev_b32_e32 v13, 5, v0
	v_mov_b32_e32 v6, 0
	v_mov_b32_e32 v7, 0
	s_waitcnt lgkmcnt(0)
	v_cmp_gt_i32_e32 vcc, s13, v13
	s_and_saveexec_b64 s[14:15], vcc
	s_cbranch_execz .LBB2_10
; %bb.7:
	s_load_dwordx4 s[8:11], s[4:5], 0x10
	s_load_dwordx4 s[16:19], s[4:5], 0x28
	v_ashrrev_i32_e32 v6, 31, v5
	v_lshlrev_b64 v[6:7], 3, v[5:6]
	s_waitcnt lgkmcnt(0)
	v_mov_b32_e32 v8, s9
	v_add_co_u32_e32 v14, vcc, s8, v6
	v_lshrrev_b32_e32 v6, 5, v0
	v_addc_co_u32_e32 v15, vcc, v8, v7, vcc
	v_lshlrev_b32_e32 v7, 3, v6
	v_mov_b32_e32 v9, s17
	v_add_co_u32_e32 v8, vcc, s16, v7
	v_addc_co_u32_e32 v9, vcc, 0, v9, vcc
	v_lshlrev_b32_e32 v6, 2, v6
	v_mov_b32_e32 v7, s19
	v_add_co_u32_e32 v10, vcc, s18, v6
	v_addc_co_u32_e32 v11, vcc, 0, v7, vcc
	v_mov_b32_e32 v6, 0
	v_mov_b32_e32 v7, 0
	s_mov_b64 s[8:9], 0
.LBB2_8:                                ; =>This Inner Loop Header: Depth=1
	global_load_dword v16, v[10:11], off
	v_add_u32_e32 v13, 32, v13
	s_waitcnt vmcnt(0)
	v_subrev_u32_e32 v16, s12, v16
	v_ashrrev_i32_e32 v18, 31, v16
	v_mul_lo_u32 v20, s11, v16
	v_mad_u64_u32 v[16:17], s[2:3], s10, v16, 0
	v_mul_lo_u32 v21, s10, v18
	global_load_dwordx2 v[18:19], v[8:9], off
	v_cmp_le_i32_e64 s[2:3], s13, v13
	s_or_b64 s[8:9], s[2:3], s[8:9]
	v_add3_u32 v17, v17, v21, v20
	v_lshlrev_b64 v[16:17], 3, v[16:17]
	v_add_co_u32_e32 v16, vcc, v14, v16
	v_addc_co_u32_e32 v17, vcc, v15, v17, vcc
	global_load_dwordx2 v[16:17], v[16:17], off
	v_add_co_u32_e32 v8, vcc, 0x100, v8
	v_addc_co_u32_e32 v9, vcc, 0, v9, vcc
	v_add_co_u32_e32 v10, vcc, 0x80, v10
	v_addc_co_u32_e32 v11, vcc, 0, v11, vcc
	s_waitcnt vmcnt(0)
	v_fma_f64 v[6:7], v[18:19], v[16:17], v[6:7]
	s_andn2_b64 exec, exec, s[8:9]
	s_cbranch_execnz .LBB2_8
; %bb.9:
	s_or_b64 exec, exec, s[8:9]
.LBB2_10:
	s_or_b64 exec, exec, s[14:15]
.LBB2_11:
	s_or_b64 exec, exec, s[6:7]
	s_movk_i32 s2, 0x200
	v_lshlrev_b32_e32 v8, 3, v0
	v_cmp_gt_u32_e32 vcc, s2, v0
	ds_write_b64 v8, v[6:7]
	s_waitcnt lgkmcnt(0)
	s_barrier
	s_and_saveexec_b64 s[2:3], vcc
	s_cbranch_execz .LBB2_13
; %bb.12:
	ds_read2st64_b64 v[13:16], v8 offset1:8
	s_waitcnt lgkmcnt(0)
	v_add_f64 v[6:7], v[15:16], v[13:14]
	ds_write_b64 v8, v[6:7]
.LBB2_13:
	s_or_b64 exec, exec, s[2:3]
	s_movk_i32 s2, 0x100
	v_cmp_gt_u32_e32 vcc, s2, v0
	s_waitcnt lgkmcnt(0)
	s_barrier
	s_and_saveexec_b64 s[2:3], vcc
	s_cbranch_execz .LBB2_15
; %bb.14:
	ds_read2st64_b64 v[13:16], v8 offset1:4
	s_waitcnt lgkmcnt(0)
	v_add_f64 v[6:7], v[15:16], v[13:14]
	ds_write_b64 v8, v[6:7]
.LBB2_15:
	s_or_b64 exec, exec, s[2:3]
	s_movk_i32 s2, 0x80
	v_cmp_gt_u32_e32 vcc, s2, v0
	s_waitcnt lgkmcnt(0)
	s_barrier
	s_and_saveexec_b64 s[2:3], vcc
	s_cbranch_execz .LBB2_17
; %bb.16:
	ds_read2st64_b64 v[13:16], v8 offset1:2
	s_waitcnt lgkmcnt(0)
	v_add_f64 v[6:7], v[15:16], v[13:14]
	ds_write_b64 v8, v[6:7]
.LBB2_17:
	s_or_b64 exec, exec, s[2:3]
	v_cmp_gt_u32_e32 vcc, 64, v0
	s_waitcnt lgkmcnt(0)
	s_barrier
	s_and_saveexec_b64 s[2:3], vcc
	s_cbranch_execz .LBB2_19
; %bb.18:
	ds_read2st64_b64 v[13:16], v8 offset1:1
	s_waitcnt lgkmcnt(0)
	v_add_f64 v[6:7], v[15:16], v[13:14]
	ds_write_b64 v8, v[6:7]
.LBB2_19:
	s_or_b64 exec, exec, s[2:3]
	v_cmp_lt_u32_e32 vcc, 31, v0
	v_cmp_gt_u32_e64 s[2:3], 32, v0
	v_lshlrev_b32_e32 v0, 3, v12
	s_waitcnt lgkmcnt(0)
	s_barrier
	s_and_saveexec_b64 s[6:7], s[2:3]
	s_cbranch_execz .LBB2_21
; %bb.20:
	ds_read_b64 v[6:7], v0 offset:256
	ds_read_b64 v[9:10], v8
	s_waitcnt lgkmcnt(0)
	v_add_f64 v[6:7], v[6:7], v[9:10]
	ds_write_b64 v8, v[6:7]
.LBB2_21:
	s_or_b64 exec, exec, s[6:7]
	s_nor_b64 s[0:1], vcc, s[0:1]
	s_and_b64 exec, exec, s[0:1]
	s_cbranch_execz .LBB2_26
; %bb.22:
	v_cmp_eq_f64_e32 vcc, 0, v[3:4]
	s_load_dwordx2 s[0:1], s[4:5], 0x40
	ds_read_b64 v[7:8], v0
	v_ashrrev_i32_e32 v6, 31, v5
	s_and_saveexec_b64 s[2:3], vcc
	s_xor_b64 s[2:3], exec, s[2:3]
	s_cbranch_execz .LBB2_24
; %bb.23:
	s_waitcnt lgkmcnt(0)
	v_mul_f64 v[0:1], v[1:2], v[7:8]
	v_lshlrev_b64 v[2:3], 3, v[5:6]
	v_mov_b32_e32 v4, s1
	v_add_co_u32_e32 v2, vcc, s0, v2
	v_addc_co_u32_e32 v3, vcc, v4, v3, vcc
                                        ; implicit-def: $vgpr5
                                        ; implicit-def: $vgpr7_vgpr8
	global_store_dwordx2 v[2:3], v[0:1], off
                                        ; implicit-def: $vgpr3_vgpr4
                                        ; implicit-def: $vgpr1_vgpr2
.LBB2_24:
	s_andn2_saveexec_b64 s[2:3], s[2:3]
	s_cbranch_execz .LBB2_26
; %bb.25:
	v_lshlrev_b64 v[5:6], 3, v[5:6]
	s_waitcnt lgkmcnt(0)
	v_mov_b32_e32 v0, s1
	v_add_co_u32_e32 v5, vcc, s0, v5
	v_addc_co_u32_e32 v6, vcc, v0, v6, vcc
	global_load_dwordx2 v[9:10], v[5:6], off
	s_waitcnt vmcnt(0)
	v_mul_f64 v[3:4], v[3:4], v[9:10]
	v_fma_f64 v[0:1], v[1:2], v[7:8], v[3:4]
	global_store_dwordx2 v[5:6], v[0:1], off
.LBB2_26:
	s_endpgm
	.section	.rodata,"a",@progbits
	.p2align	6, 0x0
	.amdhsa_kernel _ZN9rocsparseL12gemvi_kernelILj1024ELj32EidEEvT1_S1_NS_24const_host_device_scalarIT2_EEPKS3_lS1_S6_PKS1_S4_PS3_21rocsparse_index_base_b
		.amdhsa_group_segment_fixed_size 8192
		.amdhsa_private_segment_fixed_size 0
		.amdhsa_kernarg_size 80
		.amdhsa_user_sgpr_count 6
		.amdhsa_user_sgpr_private_segment_buffer 1
		.amdhsa_user_sgpr_dispatch_ptr 0
		.amdhsa_user_sgpr_queue_ptr 0
		.amdhsa_user_sgpr_kernarg_segment_ptr 1
		.amdhsa_user_sgpr_dispatch_id 0
		.amdhsa_user_sgpr_flat_scratch_init 0
		.amdhsa_user_sgpr_private_segment_size 0
		.amdhsa_uses_dynamic_stack 0
		.amdhsa_system_sgpr_private_segment_wavefront_offset 0
		.amdhsa_system_sgpr_workgroup_id_x 1
		.amdhsa_system_sgpr_workgroup_id_y 0
		.amdhsa_system_sgpr_workgroup_id_z 0
		.amdhsa_system_sgpr_workgroup_info 0
		.amdhsa_system_vgpr_workitem_id 0
		.amdhsa_next_free_vgpr 29
		.amdhsa_next_free_sgpr 61
		.amdhsa_reserve_vcc 1
		.amdhsa_reserve_flat_scratch 0
		.amdhsa_float_round_mode_32 0
		.amdhsa_float_round_mode_16_64 0
		.amdhsa_float_denorm_mode_32 3
		.amdhsa_float_denorm_mode_16_64 3
		.amdhsa_dx10_clamp 1
		.amdhsa_ieee_mode 1
		.amdhsa_fp16_overflow 0
		.amdhsa_exception_fp_ieee_invalid_op 0
		.amdhsa_exception_fp_denorm_src 0
		.amdhsa_exception_fp_ieee_div_zero 0
		.amdhsa_exception_fp_ieee_overflow 0
		.amdhsa_exception_fp_ieee_underflow 0
		.amdhsa_exception_fp_ieee_inexact 0
		.amdhsa_exception_int_div_zero 0
	.end_amdhsa_kernel
	.section	.text._ZN9rocsparseL12gemvi_kernelILj1024ELj32EidEEvT1_S1_NS_24const_host_device_scalarIT2_EEPKS3_lS1_S6_PKS1_S4_PS3_21rocsparse_index_base_b,"axG",@progbits,_ZN9rocsparseL12gemvi_kernelILj1024ELj32EidEEvT1_S1_NS_24const_host_device_scalarIT2_EEPKS3_lS1_S6_PKS1_S4_PS3_21rocsparse_index_base_b,comdat
.Lfunc_end2:
	.size	_ZN9rocsparseL12gemvi_kernelILj1024ELj32EidEEvT1_S1_NS_24const_host_device_scalarIT2_EEPKS3_lS1_S6_PKS1_S4_PS3_21rocsparse_index_base_b, .Lfunc_end2-_ZN9rocsparseL12gemvi_kernelILj1024ELj32EidEEvT1_S1_NS_24const_host_device_scalarIT2_EEPKS3_lS1_S6_PKS1_S4_PS3_21rocsparse_index_base_b
                                        ; -- End function
	.set _ZN9rocsparseL12gemvi_kernelILj1024ELj32EidEEvT1_S1_NS_24const_host_device_scalarIT2_EEPKS3_lS1_S6_PKS1_S4_PS3_21rocsparse_index_base_b.num_vgpr, 22
	.set _ZN9rocsparseL12gemvi_kernelILj1024ELj32EidEEvT1_S1_NS_24const_host_device_scalarIT2_EEPKS3_lS1_S6_PKS1_S4_PS3_21rocsparse_index_base_b.num_agpr, 0
	.set _ZN9rocsparseL12gemvi_kernelILj1024ELj32EidEEvT1_S1_NS_24const_host_device_scalarIT2_EEPKS3_lS1_S6_PKS1_S4_PS3_21rocsparse_index_base_b.numbered_sgpr, 20
	.set _ZN9rocsparseL12gemvi_kernelILj1024ELj32EidEEvT1_S1_NS_24const_host_device_scalarIT2_EEPKS3_lS1_S6_PKS1_S4_PS3_21rocsparse_index_base_b.num_named_barrier, 0
	.set _ZN9rocsparseL12gemvi_kernelILj1024ELj32EidEEvT1_S1_NS_24const_host_device_scalarIT2_EEPKS3_lS1_S6_PKS1_S4_PS3_21rocsparse_index_base_b.private_seg_size, 0
	.set _ZN9rocsparseL12gemvi_kernelILj1024ELj32EidEEvT1_S1_NS_24const_host_device_scalarIT2_EEPKS3_lS1_S6_PKS1_S4_PS3_21rocsparse_index_base_b.uses_vcc, 1
	.set _ZN9rocsparseL12gemvi_kernelILj1024ELj32EidEEvT1_S1_NS_24const_host_device_scalarIT2_EEPKS3_lS1_S6_PKS1_S4_PS3_21rocsparse_index_base_b.uses_flat_scratch, 0
	.set _ZN9rocsparseL12gemvi_kernelILj1024ELj32EidEEvT1_S1_NS_24const_host_device_scalarIT2_EEPKS3_lS1_S6_PKS1_S4_PS3_21rocsparse_index_base_b.has_dyn_sized_stack, 0
	.set _ZN9rocsparseL12gemvi_kernelILj1024ELj32EidEEvT1_S1_NS_24const_host_device_scalarIT2_EEPKS3_lS1_S6_PKS1_S4_PS3_21rocsparse_index_base_b.has_recursion, 0
	.set _ZN9rocsparseL12gemvi_kernelILj1024ELj32EidEEvT1_S1_NS_24const_host_device_scalarIT2_EEPKS3_lS1_S6_PKS1_S4_PS3_21rocsparse_index_base_b.has_indirect_call, 0
	.section	.AMDGPU.csdata,"",@progbits
; Kernel info:
; codeLenInByte = 932
; TotalNumSgprs: 24
; NumVgprs: 22
; ScratchSize: 0
; MemoryBound: 0
; FloatMode: 240
; IeeeMode: 1
; LDSByteSize: 8192 bytes/workgroup (compile time only)
; SGPRBlocks: 8
; VGPRBlocks: 7
; NumSGPRsForWavesPerEU: 65
; NumVGPRsForWavesPerEU: 29
; Occupancy: 8
; WaveLimiterHint : 1
; COMPUTE_PGM_RSRC2:SCRATCH_EN: 0
; COMPUTE_PGM_RSRC2:USER_SGPR: 6
; COMPUTE_PGM_RSRC2:TRAP_HANDLER: 0
; COMPUTE_PGM_RSRC2:TGID_X_EN: 1
; COMPUTE_PGM_RSRC2:TGID_Y_EN: 0
; COMPUTE_PGM_RSRC2:TGID_Z_EN: 0
; COMPUTE_PGM_RSRC2:TIDIG_COMP_CNT: 0
	.section	.text._ZN9rocsparseL12gemvi_kernelILj1024ELj64EidEEvT1_S1_NS_24const_host_device_scalarIT2_EEPKS3_lS1_S6_PKS1_S4_PS3_21rocsparse_index_base_b,"axG",@progbits,_ZN9rocsparseL12gemvi_kernelILj1024ELj64EidEEvT1_S1_NS_24const_host_device_scalarIT2_EEPKS3_lS1_S6_PKS1_S4_PS3_21rocsparse_index_base_b,comdat
	.globl	_ZN9rocsparseL12gemvi_kernelILj1024ELj64EidEEvT1_S1_NS_24const_host_device_scalarIT2_EEPKS3_lS1_S6_PKS1_S4_PS3_21rocsparse_index_base_b ; -- Begin function _ZN9rocsparseL12gemvi_kernelILj1024ELj64EidEEvT1_S1_NS_24const_host_device_scalarIT2_EEPKS3_lS1_S6_PKS1_S4_PS3_21rocsparse_index_base_b
	.p2align	8
	.type	_ZN9rocsparseL12gemvi_kernelILj1024ELj64EidEEvT1_S1_NS_24const_host_device_scalarIT2_EEPKS3_lS1_S6_PKS1_S4_PS3_21rocsparse_index_base_b,@function
_ZN9rocsparseL12gemvi_kernelILj1024ELj64EidEEvT1_S1_NS_24const_host_device_scalarIT2_EEPKS3_lS1_S6_PKS1_S4_PS3_21rocsparse_index_base_b: ; @_ZN9rocsparseL12gemvi_kernelILj1024ELj64EidEEvT1_S1_NS_24const_host_device_scalarIT2_EEPKS3_lS1_S6_PKS1_S4_PS3_21rocsparse_index_base_b
; %bb.0:
	s_load_dwordx2 s[12:13], s[4:5], 0x48
	s_load_dwordx2 s[8:9], s[4:5], 0x8
	;; [unrolled: 1-line block ×3, first 2 shown]
	s_waitcnt lgkmcnt(0)
	s_bitcmp1_b32 s13, 0
	s_cselect_b64 s[10:11], -1, 0
	v_mov_b32_e32 v1, s8
	s_xor_b64 s[2:3], s[10:11], -1
	s_and_b64 vcc, exec, s[10:11]
	v_mov_b32_e32 v2, s9
	s_cbranch_vccnz .LBB3_2
; %bb.1:
	v_mov_b32_e32 v1, s8
	v_mov_b32_e32 v2, s9
	flat_load_dwordx2 v[1:2], v[1:2]
.LBB3_2:
	v_mov_b32_e32 v4, s1
	s_andn2_b64 vcc, exec, s[2:3]
	v_mov_b32_e32 v3, s0
	s_cbranch_vccnz .LBB3_4
; %bb.3:
	v_mov_b32_e32 v4, s1
	v_mov_b32_e32 v3, s0
	flat_load_dwordx2 v[3:4], v[3:4]
.LBB3_4:
	s_waitcnt vmcnt(0) lgkmcnt(0)
	v_cmp_neq_f64_e32 vcc, 0, v[1:2]
	v_cmp_neq_f64_e64 s[0:1], 1.0, v[3:4]
	s_or_b64 s[0:1], vcc, s[0:1]
	s_and_saveexec_b64 s[2:3], s[0:1]
	s_cbranch_execz .LBB3_24
; %bb.5:
	s_load_dword s2, s[4:5], 0x0
	v_and_b32_e32 v12, 63, v0
	v_mov_b32_e32 v6, 0
	v_lshl_or_b32 v5, s6, 6, v12
	v_mov_b32_e32 v7, 0
	s_waitcnt lgkmcnt(0)
	v_cmp_le_i32_e64 s[0:1], s2, v5
	v_cmp_gt_i32_e32 vcc, s2, v5
	s_and_saveexec_b64 s[6:7], vcc
	s_cbranch_execz .LBB3_11
; %bb.6:
	s_load_dword s13, s[4:5], 0x20
	v_lshrrev_b32_e32 v13, 6, v0
	v_mov_b32_e32 v6, 0
	v_mov_b32_e32 v7, 0
	s_waitcnt lgkmcnt(0)
	v_cmp_gt_i32_e32 vcc, s13, v13
	s_and_saveexec_b64 s[14:15], vcc
	s_cbranch_execz .LBB3_10
; %bb.7:
	s_load_dwordx4 s[8:11], s[4:5], 0x10
	s_load_dwordx4 s[16:19], s[4:5], 0x28
	v_ashrrev_i32_e32 v6, 31, v5
	v_lshlrev_b64 v[6:7], 3, v[5:6]
	s_waitcnt lgkmcnt(0)
	v_mov_b32_e32 v8, s9
	v_add_co_u32_e32 v14, vcc, s8, v6
	v_lshrrev_b32_e32 v6, 6, v0
	v_addc_co_u32_e32 v15, vcc, v8, v7, vcc
	v_lshlrev_b32_e32 v7, 3, v6
	v_mov_b32_e32 v9, s17
	v_add_co_u32_e32 v8, vcc, s16, v7
	v_addc_co_u32_e32 v9, vcc, 0, v9, vcc
	v_lshlrev_b32_e32 v6, 2, v6
	v_mov_b32_e32 v7, s19
	v_add_co_u32_e32 v10, vcc, s18, v6
	v_addc_co_u32_e32 v11, vcc, 0, v7, vcc
	v_mov_b32_e32 v6, 0
	v_mov_b32_e32 v7, 0
	s_mov_b64 s[8:9], 0
.LBB3_8:                                ; =>This Inner Loop Header: Depth=1
	global_load_dword v16, v[10:11], off
	v_add_u32_e32 v13, 16, v13
	s_waitcnt vmcnt(0)
	v_subrev_u32_e32 v16, s12, v16
	v_ashrrev_i32_e32 v18, 31, v16
	v_mul_lo_u32 v20, s11, v16
	v_mad_u64_u32 v[16:17], s[2:3], s10, v16, 0
	v_mul_lo_u32 v21, s10, v18
	global_load_dwordx2 v[18:19], v[8:9], off
	v_add_co_u32_e64 v10, s[2:3], 64, v10
	v_add3_u32 v17, v17, v21, v20
	v_lshlrev_b64 v[16:17], 3, v[16:17]
	v_addc_co_u32_e64 v11, s[2:3], 0, v11, s[2:3]
	v_add_co_u32_e32 v16, vcc, v14, v16
	v_addc_co_u32_e32 v17, vcc, v15, v17, vcc
	global_load_dwordx2 v[16:17], v[16:17], off
	v_add_co_u32_e32 v8, vcc, 0x80, v8
	v_cmp_le_i32_e64 s[2:3], s13, v13
	s_or_b64 s[8:9], s[2:3], s[8:9]
	v_addc_co_u32_e32 v9, vcc, 0, v9, vcc
	s_waitcnt vmcnt(0)
	v_fma_f64 v[6:7], v[18:19], v[16:17], v[6:7]
	s_andn2_b64 exec, exec, s[8:9]
	s_cbranch_execnz .LBB3_8
; %bb.9:
	s_or_b64 exec, exec, s[8:9]
.LBB3_10:
	s_or_b64 exec, exec, s[14:15]
.LBB3_11:
	s_or_b64 exec, exec, s[6:7]
	s_movk_i32 s2, 0x200
	v_lshlrev_b32_e32 v8, 3, v0
	v_cmp_gt_u32_e32 vcc, s2, v0
	ds_write_b64 v8, v[6:7]
	s_waitcnt lgkmcnt(0)
	s_barrier
	s_and_saveexec_b64 s[2:3], vcc
	s_cbranch_execz .LBB3_13
; %bb.12:
	ds_read2st64_b64 v[13:16], v8 offset1:8
	s_waitcnt lgkmcnt(0)
	v_add_f64 v[6:7], v[15:16], v[13:14]
	ds_write_b64 v8, v[6:7]
.LBB3_13:
	s_or_b64 exec, exec, s[2:3]
	s_movk_i32 s2, 0x100
	v_cmp_gt_u32_e32 vcc, s2, v0
	s_waitcnt lgkmcnt(0)
	s_barrier
	s_and_saveexec_b64 s[2:3], vcc
	s_cbranch_execz .LBB3_15
; %bb.14:
	ds_read2st64_b64 v[13:16], v8 offset1:4
	s_waitcnt lgkmcnt(0)
	v_add_f64 v[6:7], v[15:16], v[13:14]
	ds_write_b64 v8, v[6:7]
.LBB3_15:
	s_or_b64 exec, exec, s[2:3]
	s_movk_i32 s2, 0x80
	v_cmp_gt_u32_e32 vcc, s2, v0
	s_waitcnt lgkmcnt(0)
	s_barrier
	s_and_saveexec_b64 s[2:3], vcc
	s_cbranch_execz .LBB3_17
; %bb.16:
	ds_read2st64_b64 v[13:16], v8 offset1:2
	s_waitcnt lgkmcnt(0)
	v_add_f64 v[6:7], v[15:16], v[13:14]
	ds_write_b64 v8, v[6:7]
.LBB3_17:
	s_or_b64 exec, exec, s[2:3]
	v_cmp_lt_u32_e32 vcc, 63, v0
	v_cmp_gt_u32_e64 s[2:3], 64, v0
	v_lshlrev_b32_e32 v0, 3, v12
	s_waitcnt lgkmcnt(0)
	s_barrier
	s_and_saveexec_b64 s[6:7], s[2:3]
	s_cbranch_execz .LBB3_19
; %bb.18:
	ds_read_b64 v[6:7], v0 offset:512
	ds_read_b64 v[9:10], v8
	s_waitcnt lgkmcnt(0)
	v_add_f64 v[6:7], v[6:7], v[9:10]
	ds_write_b64 v8, v[6:7]
.LBB3_19:
	s_or_b64 exec, exec, s[6:7]
	s_nor_b64 s[0:1], vcc, s[0:1]
	s_and_b64 exec, exec, s[0:1]
	s_cbranch_execz .LBB3_24
; %bb.20:
	v_cmp_eq_f64_e32 vcc, 0, v[3:4]
	s_load_dwordx2 s[0:1], s[4:5], 0x40
	ds_read_b64 v[7:8], v0
	v_ashrrev_i32_e32 v6, 31, v5
	s_and_saveexec_b64 s[2:3], vcc
	s_xor_b64 s[2:3], exec, s[2:3]
	s_cbranch_execz .LBB3_22
; %bb.21:
	s_waitcnt lgkmcnt(0)
	v_mul_f64 v[0:1], v[1:2], v[7:8]
	v_lshlrev_b64 v[2:3], 3, v[5:6]
	v_mov_b32_e32 v4, s1
	v_add_co_u32_e32 v2, vcc, s0, v2
	v_addc_co_u32_e32 v3, vcc, v4, v3, vcc
                                        ; implicit-def: $vgpr5
                                        ; implicit-def: $vgpr7_vgpr8
	global_store_dwordx2 v[2:3], v[0:1], off
                                        ; implicit-def: $vgpr3_vgpr4
                                        ; implicit-def: $vgpr1_vgpr2
.LBB3_22:
	s_andn2_saveexec_b64 s[2:3], s[2:3]
	s_cbranch_execz .LBB3_24
; %bb.23:
	v_lshlrev_b64 v[5:6], 3, v[5:6]
	s_waitcnt lgkmcnt(0)
	v_mov_b32_e32 v0, s1
	v_add_co_u32_e32 v5, vcc, s0, v5
	v_addc_co_u32_e32 v6, vcc, v0, v6, vcc
	global_load_dwordx2 v[9:10], v[5:6], off
	s_waitcnt vmcnt(0)
	v_mul_f64 v[3:4], v[3:4], v[9:10]
	v_fma_f64 v[0:1], v[1:2], v[7:8], v[3:4]
	global_store_dwordx2 v[5:6], v[0:1], off
.LBB3_24:
	s_endpgm
	.section	.rodata,"a",@progbits
	.p2align	6, 0x0
	.amdhsa_kernel _ZN9rocsparseL12gemvi_kernelILj1024ELj64EidEEvT1_S1_NS_24const_host_device_scalarIT2_EEPKS3_lS1_S6_PKS1_S4_PS3_21rocsparse_index_base_b
		.amdhsa_group_segment_fixed_size 8192
		.amdhsa_private_segment_fixed_size 0
		.amdhsa_kernarg_size 80
		.amdhsa_user_sgpr_count 6
		.amdhsa_user_sgpr_private_segment_buffer 1
		.amdhsa_user_sgpr_dispatch_ptr 0
		.amdhsa_user_sgpr_queue_ptr 0
		.amdhsa_user_sgpr_kernarg_segment_ptr 1
		.amdhsa_user_sgpr_dispatch_id 0
		.amdhsa_user_sgpr_flat_scratch_init 0
		.amdhsa_user_sgpr_private_segment_size 0
		.amdhsa_uses_dynamic_stack 0
		.amdhsa_system_sgpr_private_segment_wavefront_offset 0
		.amdhsa_system_sgpr_workgroup_id_x 1
		.amdhsa_system_sgpr_workgroup_id_y 0
		.amdhsa_system_sgpr_workgroup_id_z 0
		.amdhsa_system_sgpr_workgroup_info 0
		.amdhsa_system_vgpr_workitem_id 0
		.amdhsa_next_free_vgpr 29
		.amdhsa_next_free_sgpr 61
		.amdhsa_reserve_vcc 1
		.amdhsa_reserve_flat_scratch 0
		.amdhsa_float_round_mode_32 0
		.amdhsa_float_round_mode_16_64 0
		.amdhsa_float_denorm_mode_32 3
		.amdhsa_float_denorm_mode_16_64 3
		.amdhsa_dx10_clamp 1
		.amdhsa_ieee_mode 1
		.amdhsa_fp16_overflow 0
		.amdhsa_exception_fp_ieee_invalid_op 0
		.amdhsa_exception_fp_denorm_src 0
		.amdhsa_exception_fp_ieee_div_zero 0
		.amdhsa_exception_fp_ieee_overflow 0
		.amdhsa_exception_fp_ieee_underflow 0
		.amdhsa_exception_fp_ieee_inexact 0
		.amdhsa_exception_int_div_zero 0
	.end_amdhsa_kernel
	.section	.text._ZN9rocsparseL12gemvi_kernelILj1024ELj64EidEEvT1_S1_NS_24const_host_device_scalarIT2_EEPKS3_lS1_S6_PKS1_S4_PS3_21rocsparse_index_base_b,"axG",@progbits,_ZN9rocsparseL12gemvi_kernelILj1024ELj64EidEEvT1_S1_NS_24const_host_device_scalarIT2_EEPKS3_lS1_S6_PKS1_S4_PS3_21rocsparse_index_base_b,comdat
.Lfunc_end3:
	.size	_ZN9rocsparseL12gemvi_kernelILj1024ELj64EidEEvT1_S1_NS_24const_host_device_scalarIT2_EEPKS3_lS1_S6_PKS1_S4_PS3_21rocsparse_index_base_b, .Lfunc_end3-_ZN9rocsparseL12gemvi_kernelILj1024ELj64EidEEvT1_S1_NS_24const_host_device_scalarIT2_EEPKS3_lS1_S6_PKS1_S4_PS3_21rocsparse_index_base_b
                                        ; -- End function
	.set _ZN9rocsparseL12gemvi_kernelILj1024ELj64EidEEvT1_S1_NS_24const_host_device_scalarIT2_EEPKS3_lS1_S6_PKS1_S4_PS3_21rocsparse_index_base_b.num_vgpr, 22
	.set _ZN9rocsparseL12gemvi_kernelILj1024ELj64EidEEvT1_S1_NS_24const_host_device_scalarIT2_EEPKS3_lS1_S6_PKS1_S4_PS3_21rocsparse_index_base_b.num_agpr, 0
	.set _ZN9rocsparseL12gemvi_kernelILj1024ELj64EidEEvT1_S1_NS_24const_host_device_scalarIT2_EEPKS3_lS1_S6_PKS1_S4_PS3_21rocsparse_index_base_b.numbered_sgpr, 20
	.set _ZN9rocsparseL12gemvi_kernelILj1024ELj64EidEEvT1_S1_NS_24const_host_device_scalarIT2_EEPKS3_lS1_S6_PKS1_S4_PS3_21rocsparse_index_base_b.num_named_barrier, 0
	.set _ZN9rocsparseL12gemvi_kernelILj1024ELj64EidEEvT1_S1_NS_24const_host_device_scalarIT2_EEPKS3_lS1_S6_PKS1_S4_PS3_21rocsparse_index_base_b.private_seg_size, 0
	.set _ZN9rocsparseL12gemvi_kernelILj1024ELj64EidEEvT1_S1_NS_24const_host_device_scalarIT2_EEPKS3_lS1_S6_PKS1_S4_PS3_21rocsparse_index_base_b.uses_vcc, 1
	.set _ZN9rocsparseL12gemvi_kernelILj1024ELj64EidEEvT1_S1_NS_24const_host_device_scalarIT2_EEPKS3_lS1_S6_PKS1_S4_PS3_21rocsparse_index_base_b.uses_flat_scratch, 0
	.set _ZN9rocsparseL12gemvi_kernelILj1024ELj64EidEEvT1_S1_NS_24const_host_device_scalarIT2_EEPKS3_lS1_S6_PKS1_S4_PS3_21rocsparse_index_base_b.has_dyn_sized_stack, 0
	.set _ZN9rocsparseL12gemvi_kernelILj1024ELj64EidEEvT1_S1_NS_24const_host_device_scalarIT2_EEPKS3_lS1_S6_PKS1_S4_PS3_21rocsparse_index_base_b.has_recursion, 0
	.set _ZN9rocsparseL12gemvi_kernelILj1024ELj64EidEEvT1_S1_NS_24const_host_device_scalarIT2_EEPKS3_lS1_S6_PKS1_S4_PS3_21rocsparse_index_base_b.has_indirect_call, 0
	.section	.AMDGPU.csdata,"",@progbits
; Kernel info:
; codeLenInByte = 884
; TotalNumSgprs: 24
; NumVgprs: 22
; ScratchSize: 0
; MemoryBound: 0
; FloatMode: 240
; IeeeMode: 1
; LDSByteSize: 8192 bytes/workgroup (compile time only)
; SGPRBlocks: 8
; VGPRBlocks: 7
; NumSGPRsForWavesPerEU: 65
; NumVGPRsForWavesPerEU: 29
; Occupancy: 8
; WaveLimiterHint : 1
; COMPUTE_PGM_RSRC2:SCRATCH_EN: 0
; COMPUTE_PGM_RSRC2:USER_SGPR: 6
; COMPUTE_PGM_RSRC2:TRAP_HANDLER: 0
; COMPUTE_PGM_RSRC2:TGID_X_EN: 1
; COMPUTE_PGM_RSRC2:TGID_Y_EN: 0
; COMPUTE_PGM_RSRC2:TGID_Z_EN: 0
; COMPUTE_PGM_RSRC2:TIDIG_COMP_CNT: 0
	.section	.text._ZN9rocsparseL12gemvi_kernelILj1024ELj32Ei21rocsparse_complex_numIfEEEvT1_S3_NS_24const_host_device_scalarIT2_EEPKS5_lS3_S8_PKS3_S6_PS5_21rocsparse_index_base_b,"axG",@progbits,_ZN9rocsparseL12gemvi_kernelILj1024ELj32Ei21rocsparse_complex_numIfEEEvT1_S3_NS_24const_host_device_scalarIT2_EEPKS5_lS3_S8_PKS3_S6_PS5_21rocsparse_index_base_b,comdat
	.globl	_ZN9rocsparseL12gemvi_kernelILj1024ELj32Ei21rocsparse_complex_numIfEEEvT1_S3_NS_24const_host_device_scalarIT2_EEPKS5_lS3_S8_PKS3_S6_PS5_21rocsparse_index_base_b ; -- Begin function _ZN9rocsparseL12gemvi_kernelILj1024ELj32Ei21rocsparse_complex_numIfEEEvT1_S3_NS_24const_host_device_scalarIT2_EEPKS5_lS3_S8_PKS3_S6_PS5_21rocsparse_index_base_b
	.p2align	8
	.type	_ZN9rocsparseL12gemvi_kernelILj1024ELj32Ei21rocsparse_complex_numIfEEEvT1_S3_NS_24const_host_device_scalarIT2_EEPKS5_lS3_S8_PKS3_S6_PS5_21rocsparse_index_base_b,@function
_ZN9rocsparseL12gemvi_kernelILj1024ELj32Ei21rocsparse_complex_numIfEEEvT1_S3_NS_24const_host_device_scalarIT2_EEPKS5_lS3_S8_PKS3_S6_PS5_21rocsparse_index_base_b: ; @_ZN9rocsparseL12gemvi_kernelILj1024ELj32Ei21rocsparse_complex_numIfEEEvT1_S3_NS_24const_host_device_scalarIT2_EEPKS5_lS3_S8_PKS3_S6_PS5_21rocsparse_index_base_b
; %bb.0:
	s_load_dwordx2 s[0:1], s[4:5], 0x8
	s_load_dwordx2 s[2:3], s[4:5], 0x38
	;; [unrolled: 1-line block ×3, first 2 shown]
	s_add_u32 s7, s4, 8
	s_addc_u32 s8, s5, 0
	s_add_u32 s9, s4, 56
	s_addc_u32 s10, s5, 0
	s_waitcnt lgkmcnt(0)
	s_bitcmp1_b32 s13, 0
	s_cselect_b32 s1, s8, s1
	s_cselect_b32 s0, s7, s0
	v_mov_b32_e32 v1, s0
	v_mov_b32_e32 v2, s1
	flat_load_dwordx2 v[1:2], v[1:2]
	s_cselect_b32 s0, s10, s3
	s_cselect_b32 s1, s9, s2
	v_mov_b32_e32 v3, s1
	v_mov_b32_e32 v4, s0
	flat_load_dwordx2 v[3:4], v[3:4]
	s_waitcnt vmcnt(0) lgkmcnt(0)
	v_cmp_eq_f32_e32 vcc, 0, v1
	v_cmp_eq_f32_e64 s[0:1], 0, v2
	s_and_b64 s[8:9], vcc, s[0:1]
	s_mov_b64 s[0:1], -1
	s_and_saveexec_b64 s[2:3], s[8:9]
; %bb.1:
	v_cmp_neq_f32_e32 vcc, 1.0, v3
	v_cmp_neq_f32_e64 s[0:1], 0, v4
	s_or_b64 s[0:1], vcc, s[0:1]
	s_orn2_b64 s[0:1], s[0:1], exec
; %bb.2:
	s_or_b64 exec, exec, s[2:3]
	s_and_saveexec_b64 s[2:3], s[0:1]
	s_cbranch_execz .LBB4_24
; %bb.3:
	s_load_dword s2, s[4:5], 0x0
	v_and_b32_e32 v12, 31, v0
	v_mov_b32_e32 v6, 0
	v_lshl_or_b32 v5, s6, 5, v12
	v_mov_b32_e32 v7, v6
	s_waitcnt lgkmcnt(0)
	v_cmp_le_i32_e64 s[0:1], s2, v5
	v_cmp_gt_i32_e32 vcc, s2, v5
	s_and_saveexec_b64 s[6:7], vcc
	s_cbranch_execz .LBB4_9
; %bb.4:
	s_load_dword s13, s[4:5], 0x20
	v_lshrrev_b32_e32 v13, 5, v0
	v_mov_b32_e32 v7, 0
	v_mov_b32_e32 v6, 0
	s_waitcnt lgkmcnt(0)
	v_cmp_gt_i32_e32 vcc, s13, v13
	s_and_saveexec_b64 s[14:15], vcc
	s_cbranch_execz .LBB4_8
; %bb.5:
	s_load_dwordx4 s[8:11], s[4:5], 0x10
	s_load_dwordx4 s[16:19], s[4:5], 0x28
	v_ashrrev_i32_e32 v6, 31, v5
	v_lshlrev_b64 v[6:7], 3, v[5:6]
	s_waitcnt lgkmcnt(0)
	v_mov_b32_e32 v8, s9
	v_add_co_u32_e32 v14, vcc, s8, v6
	v_lshrrev_b32_e32 v6, 5, v0
	v_addc_co_u32_e32 v15, vcc, v8, v7, vcc
	v_lshlrev_b32_e32 v8, 3, v6
	v_mov_b32_e32 v9, s17
	v_add_co_u32_e32 v8, vcc, s16, v8
	v_addc_co_u32_e32 v9, vcc, 0, v9, vcc
	v_add_co_u32_e32 v8, vcc, 4, v8
	v_addc_co_u32_e32 v9, vcc, 0, v9, vcc
	v_lshlrev_b32_e32 v6, 2, v6
	v_mov_b32_e32 v7, 0
	v_mov_b32_e32 v11, s19
	v_add_co_u32_e32 v10, vcc, s18, v6
	v_addc_co_u32_e32 v11, vcc, 0, v11, vcc
	s_mov_b64 s[8:9], 0
	v_mov_b32_e32 v6, v7
.LBB4_6:                                ; =>This Inner Loop Header: Depth=1
	global_load_dword v18, v[10:11], off
	global_load_dwordx2 v[16:17], v[8:9], off offset:-4
	v_add_u32_e32 v13, 32, v13
	s_waitcnt vmcnt(1)
	v_subrev_u32_e32 v18, s12, v18
	v_ashrrev_i32_e32 v20, 31, v18
	v_mul_lo_u32 v21, s11, v18
	v_mad_u64_u32 v[18:19], s[2:3], s10, v18, 0
	v_mul_lo_u32 v20, s10, v20
	v_cmp_le_i32_e64 s[2:3], s13, v13
	s_or_b64 s[8:9], s[2:3], s[8:9]
	v_add3_u32 v19, v19, v20, v21
	v_lshlrev_b64 v[18:19], 3, v[18:19]
	v_add_co_u32_e32 v18, vcc, v14, v18
	v_addc_co_u32_e32 v19, vcc, v15, v19, vcc
	global_load_dwordx2 v[18:19], v[18:19], off
	v_add_co_u32_e32 v8, vcc, 0x100, v8
	v_addc_co_u32_e32 v9, vcc, 0, v9, vcc
	v_add_co_u32_e32 v10, vcc, 0x80, v10
	v_addc_co_u32_e32 v11, vcc, 0, v11, vcc
	s_waitcnt vmcnt(0)
	v_fmac_f32_e32 v6, v16, v18
	v_fmac_f32_e32 v7, v17, v18
	v_fma_f32 v6, -v17, v19, v6
	v_fmac_f32_e32 v7, v16, v19
	s_andn2_b64 exec, exec, s[8:9]
	s_cbranch_execnz .LBB4_6
; %bb.7:
	s_or_b64 exec, exec, s[8:9]
.LBB4_8:
	s_or_b64 exec, exec, s[14:15]
.LBB4_9:
	s_or_b64 exec, exec, s[6:7]
	s_movk_i32 s2, 0x200
	v_lshlrev_b32_e32 v8, 3, v0
	v_cmp_gt_u32_e32 vcc, s2, v0
	ds_write_b64 v8, v[6:7]
	s_waitcnt lgkmcnt(0)
	s_barrier
	s_and_saveexec_b64 s[2:3], vcc
	s_cbranch_execz .LBB4_11
; %bb.10:
	ds_read2st64_b64 v[13:16], v8 offset1:8
	s_waitcnt lgkmcnt(0)
	v_add_f32_e32 v6, v15, v13
	v_add_f32_e32 v7, v16, v14
	ds_write_b64 v8, v[6:7]
.LBB4_11:
	s_or_b64 exec, exec, s[2:3]
	s_movk_i32 s2, 0x100
	v_cmp_gt_u32_e32 vcc, s2, v0
	s_waitcnt lgkmcnt(0)
	s_barrier
	s_and_saveexec_b64 s[2:3], vcc
	s_cbranch_execz .LBB4_13
; %bb.12:
	ds_read2st64_b64 v[13:16], v8 offset1:4
	s_waitcnt lgkmcnt(0)
	v_add_f32_e32 v6, v15, v13
	v_add_f32_e32 v7, v16, v14
	ds_write_b64 v8, v[6:7]
.LBB4_13:
	s_or_b64 exec, exec, s[2:3]
	s_movk_i32 s2, 0x80
	v_cmp_gt_u32_e32 vcc, s2, v0
	s_waitcnt lgkmcnt(0)
	s_barrier
	s_and_saveexec_b64 s[2:3], vcc
	s_cbranch_execz .LBB4_15
; %bb.14:
	ds_read2st64_b64 v[13:16], v8 offset1:2
	s_waitcnt lgkmcnt(0)
	v_add_f32_e32 v6, v15, v13
	v_add_f32_e32 v7, v16, v14
	ds_write_b64 v8, v[6:7]
.LBB4_15:
	s_or_b64 exec, exec, s[2:3]
	v_cmp_gt_u32_e32 vcc, 64, v0
	s_waitcnt lgkmcnt(0)
	s_barrier
	s_and_saveexec_b64 s[2:3], vcc
	s_cbranch_execz .LBB4_17
; %bb.16:
	ds_read2st64_b64 v[13:16], v8 offset1:1
	s_waitcnt lgkmcnt(0)
	v_add_f32_e32 v6, v15, v13
	v_add_f32_e32 v7, v16, v14
	ds_write_b64 v8, v[6:7]
.LBB4_17:
	s_or_b64 exec, exec, s[2:3]
	v_cmp_lt_u32_e32 vcc, 31, v0
	v_cmp_gt_u32_e64 s[2:3], 32, v0
	v_lshlrev_b32_e32 v0, 3, v12
	s_waitcnt lgkmcnt(0)
	s_barrier
	s_and_saveexec_b64 s[6:7], s[2:3]
	s_cbranch_execz .LBB4_19
; %bb.18:
	ds_read_b64 v[6:7], v0 offset:256
	ds_read_b64 v[9:10], v8
	s_waitcnt lgkmcnt(0)
	v_add_f32_e32 v6, v6, v9
	v_add_f32_e32 v7, v7, v10
	ds_write_b64 v8, v[6:7]
.LBB4_19:
	s_or_b64 exec, exec, s[6:7]
	s_nor_b64 s[0:1], vcc, s[0:1]
	s_and_b64 exec, exec, s[0:1]
	s_cbranch_execz .LBB4_24
; %bb.20:
	s_load_dwordx2 s[0:1], s[4:5], 0x40
	ds_read_b64 v[7:8], v0
	v_or_b32_e32 v0, v3, v4
	v_and_b32_e32 v0, 0x7fffffff, v0
	v_cmp_eq_u32_e32 vcc, 0, v0
	v_ashrrev_i32_e32 v6, 31, v5
	s_and_saveexec_b64 s[2:3], vcc
	s_xor_b64 s[2:3], exec, s[2:3]
	s_cbranch_execz .LBB4_22
; %bb.21:
	s_waitcnt lgkmcnt(0)
	v_mul_f32_e64 v0, v8, -v2
	v_fmac_f32_e32 v0, v1, v7
	v_mul_f32_e32 v1, v1, v8
	v_fmac_f32_e32 v1, v2, v7
	v_lshlrev_b64 v[2:3], 3, v[5:6]
	v_mov_b32_e32 v4, s1
	v_add_co_u32_e32 v2, vcc, s0, v2
	v_addc_co_u32_e32 v3, vcc, v4, v3, vcc
	global_store_dwordx2 v[2:3], v[0:1], off
                                        ; implicit-def: $vgpr5
                                        ; implicit-def: $vgpr3_vgpr4
                                        ; implicit-def: $vgpr1_vgpr2
                                        ; implicit-def: $vgpr7_vgpr8
.LBB4_22:
	s_andn2_saveexec_b64 s[2:3], s[2:3]
	s_cbranch_execz .LBB4_24
; %bb.23:
	v_lshlrev_b64 v[5:6], 3, v[5:6]
	s_waitcnt lgkmcnt(0)
	v_mov_b32_e32 v0, s1
	v_add_co_u32_e32 v5, vcc, s0, v5
	v_addc_co_u32_e32 v6, vcc, v0, v6, vcc
	global_load_dwordx2 v[9:10], v[5:6], off
	s_waitcnt vmcnt(0)
	v_mul_f32_e64 v0, v10, -v4
	v_mul_f32_e32 v10, v10, v3
	v_fmac_f32_e32 v0, v3, v9
	v_fmac_f32_e32 v10, v4, v9
	;; [unrolled: 1-line block ×4, first 2 shown]
	v_fma_f32 v9, -v2, v8, v0
	v_fmac_f32_e32 v10, v1, v8
	global_store_dwordx2 v[5:6], v[9:10], off
.LBB4_24:
	s_endpgm
	.section	.rodata,"a",@progbits
	.p2align	6, 0x0
	.amdhsa_kernel _ZN9rocsparseL12gemvi_kernelILj1024ELj32Ei21rocsparse_complex_numIfEEEvT1_S3_NS_24const_host_device_scalarIT2_EEPKS5_lS3_S8_PKS3_S6_PS5_21rocsparse_index_base_b
		.amdhsa_group_segment_fixed_size 8192
		.amdhsa_private_segment_fixed_size 0
		.amdhsa_kernarg_size 80
		.amdhsa_user_sgpr_count 6
		.amdhsa_user_sgpr_private_segment_buffer 1
		.amdhsa_user_sgpr_dispatch_ptr 0
		.amdhsa_user_sgpr_queue_ptr 0
		.amdhsa_user_sgpr_kernarg_segment_ptr 1
		.amdhsa_user_sgpr_dispatch_id 0
		.amdhsa_user_sgpr_flat_scratch_init 0
		.amdhsa_user_sgpr_private_segment_size 0
		.amdhsa_uses_dynamic_stack 0
		.amdhsa_system_sgpr_private_segment_wavefront_offset 0
		.amdhsa_system_sgpr_workgroup_id_x 1
		.amdhsa_system_sgpr_workgroup_id_y 0
		.amdhsa_system_sgpr_workgroup_id_z 0
		.amdhsa_system_sgpr_workgroup_info 0
		.amdhsa_system_vgpr_workitem_id 0
		.amdhsa_next_free_vgpr 29
		.amdhsa_next_free_sgpr 61
		.amdhsa_reserve_vcc 1
		.amdhsa_reserve_flat_scratch 0
		.amdhsa_float_round_mode_32 0
		.amdhsa_float_round_mode_16_64 0
		.amdhsa_float_denorm_mode_32 3
		.amdhsa_float_denorm_mode_16_64 3
		.amdhsa_dx10_clamp 1
		.amdhsa_ieee_mode 1
		.amdhsa_fp16_overflow 0
		.amdhsa_exception_fp_ieee_invalid_op 0
		.amdhsa_exception_fp_denorm_src 0
		.amdhsa_exception_fp_ieee_div_zero 0
		.amdhsa_exception_fp_ieee_overflow 0
		.amdhsa_exception_fp_ieee_underflow 0
		.amdhsa_exception_fp_ieee_inexact 0
		.amdhsa_exception_int_div_zero 0
	.end_amdhsa_kernel
	.section	.text._ZN9rocsparseL12gemvi_kernelILj1024ELj32Ei21rocsparse_complex_numIfEEEvT1_S3_NS_24const_host_device_scalarIT2_EEPKS5_lS3_S8_PKS3_S6_PS5_21rocsparse_index_base_b,"axG",@progbits,_ZN9rocsparseL12gemvi_kernelILj1024ELj32Ei21rocsparse_complex_numIfEEEvT1_S3_NS_24const_host_device_scalarIT2_EEPKS5_lS3_S8_PKS3_S6_PS5_21rocsparse_index_base_b,comdat
.Lfunc_end4:
	.size	_ZN9rocsparseL12gemvi_kernelILj1024ELj32Ei21rocsparse_complex_numIfEEEvT1_S3_NS_24const_host_device_scalarIT2_EEPKS5_lS3_S8_PKS3_S6_PS5_21rocsparse_index_base_b, .Lfunc_end4-_ZN9rocsparseL12gemvi_kernelILj1024ELj32Ei21rocsparse_complex_numIfEEEvT1_S3_NS_24const_host_device_scalarIT2_EEPKS5_lS3_S8_PKS3_S6_PS5_21rocsparse_index_base_b
                                        ; -- End function
	.set _ZN9rocsparseL12gemvi_kernelILj1024ELj32Ei21rocsparse_complex_numIfEEEvT1_S3_NS_24const_host_device_scalarIT2_EEPKS5_lS3_S8_PKS3_S6_PS5_21rocsparse_index_base_b.num_vgpr, 22
	.set _ZN9rocsparseL12gemvi_kernelILj1024ELj32Ei21rocsparse_complex_numIfEEEvT1_S3_NS_24const_host_device_scalarIT2_EEPKS5_lS3_S8_PKS3_S6_PS5_21rocsparse_index_base_b.num_agpr, 0
	.set _ZN9rocsparseL12gemvi_kernelILj1024ELj32Ei21rocsparse_complex_numIfEEEvT1_S3_NS_24const_host_device_scalarIT2_EEPKS5_lS3_S8_PKS3_S6_PS5_21rocsparse_index_base_b.numbered_sgpr, 20
	.set _ZN9rocsparseL12gemvi_kernelILj1024ELj32Ei21rocsparse_complex_numIfEEEvT1_S3_NS_24const_host_device_scalarIT2_EEPKS5_lS3_S8_PKS3_S6_PS5_21rocsparse_index_base_b.num_named_barrier, 0
	.set _ZN9rocsparseL12gemvi_kernelILj1024ELj32Ei21rocsparse_complex_numIfEEEvT1_S3_NS_24const_host_device_scalarIT2_EEPKS5_lS3_S8_PKS3_S6_PS5_21rocsparse_index_base_b.private_seg_size, 0
	.set _ZN9rocsparseL12gemvi_kernelILj1024ELj32Ei21rocsparse_complex_numIfEEEvT1_S3_NS_24const_host_device_scalarIT2_EEPKS5_lS3_S8_PKS3_S6_PS5_21rocsparse_index_base_b.uses_vcc, 1
	.set _ZN9rocsparseL12gemvi_kernelILj1024ELj32Ei21rocsparse_complex_numIfEEEvT1_S3_NS_24const_host_device_scalarIT2_EEPKS5_lS3_S8_PKS3_S6_PS5_21rocsparse_index_base_b.uses_flat_scratch, 0
	.set _ZN9rocsparseL12gemvi_kernelILj1024ELj32Ei21rocsparse_complex_numIfEEEvT1_S3_NS_24const_host_device_scalarIT2_EEPKS5_lS3_S8_PKS3_S6_PS5_21rocsparse_index_base_b.has_dyn_sized_stack, 0
	.set _ZN9rocsparseL12gemvi_kernelILj1024ELj32Ei21rocsparse_complex_numIfEEEvT1_S3_NS_24const_host_device_scalarIT2_EEPKS5_lS3_S8_PKS3_S6_PS5_21rocsparse_index_base_b.has_recursion, 0
	.set _ZN9rocsparseL12gemvi_kernelILj1024ELj32Ei21rocsparse_complex_numIfEEEvT1_S3_NS_24const_host_device_scalarIT2_EEPKS5_lS3_S8_PKS3_S6_PS5_21rocsparse_index_base_b.has_indirect_call, 0
	.section	.AMDGPU.csdata,"",@progbits
; Kernel info:
; codeLenInByte = 1024
; TotalNumSgprs: 24
; NumVgprs: 22
; ScratchSize: 0
; MemoryBound: 0
; FloatMode: 240
; IeeeMode: 1
; LDSByteSize: 8192 bytes/workgroup (compile time only)
; SGPRBlocks: 8
; VGPRBlocks: 7
; NumSGPRsForWavesPerEU: 65
; NumVGPRsForWavesPerEU: 29
; Occupancy: 8
; WaveLimiterHint : 1
; COMPUTE_PGM_RSRC2:SCRATCH_EN: 0
; COMPUTE_PGM_RSRC2:USER_SGPR: 6
; COMPUTE_PGM_RSRC2:TRAP_HANDLER: 0
; COMPUTE_PGM_RSRC2:TGID_X_EN: 1
; COMPUTE_PGM_RSRC2:TGID_Y_EN: 0
; COMPUTE_PGM_RSRC2:TGID_Z_EN: 0
; COMPUTE_PGM_RSRC2:TIDIG_COMP_CNT: 0
	.section	.text._ZN9rocsparseL12gemvi_kernelILj1024ELj64Ei21rocsparse_complex_numIfEEEvT1_S3_NS_24const_host_device_scalarIT2_EEPKS5_lS3_S8_PKS3_S6_PS5_21rocsparse_index_base_b,"axG",@progbits,_ZN9rocsparseL12gemvi_kernelILj1024ELj64Ei21rocsparse_complex_numIfEEEvT1_S3_NS_24const_host_device_scalarIT2_EEPKS5_lS3_S8_PKS3_S6_PS5_21rocsparse_index_base_b,comdat
	.globl	_ZN9rocsparseL12gemvi_kernelILj1024ELj64Ei21rocsparse_complex_numIfEEEvT1_S3_NS_24const_host_device_scalarIT2_EEPKS5_lS3_S8_PKS3_S6_PS5_21rocsparse_index_base_b ; -- Begin function _ZN9rocsparseL12gemvi_kernelILj1024ELj64Ei21rocsparse_complex_numIfEEEvT1_S3_NS_24const_host_device_scalarIT2_EEPKS5_lS3_S8_PKS3_S6_PS5_21rocsparse_index_base_b
	.p2align	8
	.type	_ZN9rocsparseL12gemvi_kernelILj1024ELj64Ei21rocsparse_complex_numIfEEEvT1_S3_NS_24const_host_device_scalarIT2_EEPKS5_lS3_S8_PKS3_S6_PS5_21rocsparse_index_base_b,@function
_ZN9rocsparseL12gemvi_kernelILj1024ELj64Ei21rocsparse_complex_numIfEEEvT1_S3_NS_24const_host_device_scalarIT2_EEPKS5_lS3_S8_PKS3_S6_PS5_21rocsparse_index_base_b: ; @_ZN9rocsparseL12gemvi_kernelILj1024ELj64Ei21rocsparse_complex_numIfEEEvT1_S3_NS_24const_host_device_scalarIT2_EEPKS5_lS3_S8_PKS3_S6_PS5_21rocsparse_index_base_b
; %bb.0:
	s_load_dwordx2 s[0:1], s[4:5], 0x8
	s_load_dwordx2 s[2:3], s[4:5], 0x38
	;; [unrolled: 1-line block ×3, first 2 shown]
	s_add_u32 s7, s4, 8
	s_addc_u32 s8, s5, 0
	s_add_u32 s9, s4, 56
	s_addc_u32 s10, s5, 0
	s_waitcnt lgkmcnt(0)
	s_bitcmp1_b32 s13, 0
	s_cselect_b32 s1, s8, s1
	s_cselect_b32 s0, s7, s0
	v_mov_b32_e32 v1, s0
	v_mov_b32_e32 v2, s1
	flat_load_dwordx2 v[1:2], v[1:2]
	s_cselect_b32 s0, s10, s3
	s_cselect_b32 s1, s9, s2
	v_mov_b32_e32 v3, s1
	v_mov_b32_e32 v4, s0
	flat_load_dwordx2 v[3:4], v[3:4]
	s_waitcnt vmcnt(0) lgkmcnt(0)
	v_cmp_eq_f32_e32 vcc, 0, v1
	v_cmp_eq_f32_e64 s[0:1], 0, v2
	s_and_b64 s[8:9], vcc, s[0:1]
	s_mov_b64 s[0:1], -1
	s_and_saveexec_b64 s[2:3], s[8:9]
; %bb.1:
	v_cmp_neq_f32_e32 vcc, 1.0, v3
	v_cmp_neq_f32_e64 s[0:1], 0, v4
	s_or_b64 s[0:1], vcc, s[0:1]
	s_orn2_b64 s[0:1], s[0:1], exec
; %bb.2:
	s_or_b64 exec, exec, s[2:3]
	s_and_saveexec_b64 s[2:3], s[0:1]
	s_cbranch_execz .LBB5_22
; %bb.3:
	s_load_dword s2, s[4:5], 0x0
	v_and_b32_e32 v12, 63, v0
	v_mov_b32_e32 v6, 0
	v_lshl_or_b32 v5, s6, 6, v12
	v_mov_b32_e32 v7, v6
	s_waitcnt lgkmcnt(0)
	v_cmp_le_i32_e64 s[0:1], s2, v5
	v_cmp_gt_i32_e32 vcc, s2, v5
	s_and_saveexec_b64 s[6:7], vcc
	s_cbranch_execz .LBB5_9
; %bb.4:
	s_load_dword s13, s[4:5], 0x20
	v_lshrrev_b32_e32 v13, 6, v0
	v_mov_b32_e32 v7, 0
	v_mov_b32_e32 v6, 0
	s_waitcnt lgkmcnt(0)
	v_cmp_gt_i32_e32 vcc, s13, v13
	s_and_saveexec_b64 s[14:15], vcc
	s_cbranch_execz .LBB5_8
; %bb.5:
	s_load_dwordx4 s[8:11], s[4:5], 0x10
	s_load_dwordx4 s[16:19], s[4:5], 0x28
	v_ashrrev_i32_e32 v6, 31, v5
	v_lshlrev_b64 v[6:7], 3, v[5:6]
	s_waitcnt lgkmcnt(0)
	v_mov_b32_e32 v8, s9
	v_add_co_u32_e32 v14, vcc, s8, v6
	v_lshrrev_b32_e32 v6, 6, v0
	v_addc_co_u32_e32 v15, vcc, v8, v7, vcc
	v_lshlrev_b32_e32 v8, 3, v6
	v_mov_b32_e32 v9, s17
	v_add_co_u32_e32 v8, vcc, s16, v8
	v_addc_co_u32_e32 v9, vcc, 0, v9, vcc
	v_add_co_u32_e32 v8, vcc, 4, v8
	v_addc_co_u32_e32 v9, vcc, 0, v9, vcc
	v_lshlrev_b32_e32 v6, 2, v6
	v_mov_b32_e32 v7, 0
	v_mov_b32_e32 v11, s19
	v_add_co_u32_e32 v10, vcc, s18, v6
	v_addc_co_u32_e32 v11, vcc, 0, v11, vcc
	s_mov_b64 s[8:9], 0
	v_mov_b32_e32 v6, v7
.LBB5_6:                                ; =>This Inner Loop Header: Depth=1
	global_load_dword v18, v[10:11], off
	global_load_dwordx2 v[16:17], v[8:9], off offset:-4
	v_add_u32_e32 v13, 16, v13
	s_waitcnt vmcnt(1)
	v_subrev_u32_e32 v18, s12, v18
	v_ashrrev_i32_e32 v20, 31, v18
	v_mul_lo_u32 v21, s11, v18
	v_mad_u64_u32 v[18:19], s[2:3], s10, v18, 0
	v_mul_lo_u32 v20, s10, v20
	v_add_co_u32_e64 v10, s[2:3], 64, v10
	v_addc_co_u32_e64 v11, s[2:3], 0, v11, s[2:3]
	v_add3_u32 v19, v19, v20, v21
	v_lshlrev_b64 v[18:19], 3, v[18:19]
	v_add_co_u32_e32 v18, vcc, v14, v18
	v_addc_co_u32_e32 v19, vcc, v15, v19, vcc
	global_load_dwordx2 v[18:19], v[18:19], off
	v_add_co_u32_e32 v8, vcc, 0x80, v8
	v_addc_co_u32_e32 v9, vcc, 0, v9, vcc
	v_cmp_le_i32_e32 vcc, s13, v13
	s_or_b64 s[8:9], vcc, s[8:9]
	s_waitcnt vmcnt(0)
	v_fmac_f32_e32 v6, v16, v18
	v_fmac_f32_e32 v7, v17, v18
	v_fma_f32 v6, -v17, v19, v6
	v_fmac_f32_e32 v7, v16, v19
	s_andn2_b64 exec, exec, s[8:9]
	s_cbranch_execnz .LBB5_6
; %bb.7:
	s_or_b64 exec, exec, s[8:9]
.LBB5_8:
	s_or_b64 exec, exec, s[14:15]
.LBB5_9:
	s_or_b64 exec, exec, s[6:7]
	s_movk_i32 s2, 0x200
	v_lshlrev_b32_e32 v8, 3, v0
	v_cmp_gt_u32_e32 vcc, s2, v0
	ds_write_b64 v8, v[6:7]
	s_waitcnt lgkmcnt(0)
	s_barrier
	s_and_saveexec_b64 s[2:3], vcc
	s_cbranch_execz .LBB5_11
; %bb.10:
	ds_read2st64_b64 v[13:16], v8 offset1:8
	s_waitcnt lgkmcnt(0)
	v_add_f32_e32 v6, v15, v13
	v_add_f32_e32 v7, v16, v14
	ds_write_b64 v8, v[6:7]
.LBB5_11:
	s_or_b64 exec, exec, s[2:3]
	s_movk_i32 s2, 0x100
	v_cmp_gt_u32_e32 vcc, s2, v0
	s_waitcnt lgkmcnt(0)
	s_barrier
	s_and_saveexec_b64 s[2:3], vcc
	s_cbranch_execz .LBB5_13
; %bb.12:
	ds_read2st64_b64 v[13:16], v8 offset1:4
	s_waitcnt lgkmcnt(0)
	v_add_f32_e32 v6, v15, v13
	v_add_f32_e32 v7, v16, v14
	ds_write_b64 v8, v[6:7]
.LBB5_13:
	s_or_b64 exec, exec, s[2:3]
	s_movk_i32 s2, 0x80
	v_cmp_gt_u32_e32 vcc, s2, v0
	s_waitcnt lgkmcnt(0)
	s_barrier
	s_and_saveexec_b64 s[2:3], vcc
	s_cbranch_execz .LBB5_15
; %bb.14:
	ds_read2st64_b64 v[13:16], v8 offset1:2
	s_waitcnt lgkmcnt(0)
	v_add_f32_e32 v6, v15, v13
	v_add_f32_e32 v7, v16, v14
	ds_write_b64 v8, v[6:7]
.LBB5_15:
	s_or_b64 exec, exec, s[2:3]
	v_cmp_lt_u32_e32 vcc, 63, v0
	v_cmp_gt_u32_e64 s[2:3], 64, v0
	v_lshlrev_b32_e32 v0, 3, v12
	s_waitcnt lgkmcnt(0)
	s_barrier
	s_and_saveexec_b64 s[6:7], s[2:3]
	s_cbranch_execz .LBB5_17
; %bb.16:
	ds_read_b64 v[6:7], v0 offset:512
	ds_read_b64 v[9:10], v8
	s_waitcnt lgkmcnt(0)
	v_add_f32_e32 v6, v6, v9
	v_add_f32_e32 v7, v7, v10
	ds_write_b64 v8, v[6:7]
.LBB5_17:
	s_or_b64 exec, exec, s[6:7]
	s_nor_b64 s[0:1], vcc, s[0:1]
	s_and_b64 exec, exec, s[0:1]
	s_cbranch_execz .LBB5_22
; %bb.18:
	s_load_dwordx2 s[0:1], s[4:5], 0x40
	ds_read_b64 v[7:8], v0
	v_or_b32_e32 v0, v3, v4
	v_and_b32_e32 v0, 0x7fffffff, v0
	v_cmp_eq_u32_e32 vcc, 0, v0
	v_ashrrev_i32_e32 v6, 31, v5
	s_and_saveexec_b64 s[2:3], vcc
	s_xor_b64 s[2:3], exec, s[2:3]
	s_cbranch_execz .LBB5_20
; %bb.19:
	s_waitcnt lgkmcnt(0)
	v_mul_f32_e64 v0, v8, -v2
	v_fmac_f32_e32 v0, v1, v7
	v_mul_f32_e32 v1, v1, v8
	v_fmac_f32_e32 v1, v2, v7
	v_lshlrev_b64 v[2:3], 3, v[5:6]
	v_mov_b32_e32 v4, s1
	v_add_co_u32_e32 v2, vcc, s0, v2
	v_addc_co_u32_e32 v3, vcc, v4, v3, vcc
	global_store_dwordx2 v[2:3], v[0:1], off
                                        ; implicit-def: $vgpr5
                                        ; implicit-def: $vgpr3_vgpr4
                                        ; implicit-def: $vgpr1_vgpr2
                                        ; implicit-def: $vgpr7_vgpr8
.LBB5_20:
	s_andn2_saveexec_b64 s[2:3], s[2:3]
	s_cbranch_execz .LBB5_22
; %bb.21:
	v_lshlrev_b64 v[5:6], 3, v[5:6]
	s_waitcnt lgkmcnt(0)
	v_mov_b32_e32 v0, s1
	v_add_co_u32_e32 v5, vcc, s0, v5
	v_addc_co_u32_e32 v6, vcc, v0, v6, vcc
	global_load_dwordx2 v[9:10], v[5:6], off
	s_waitcnt vmcnt(0)
	v_mul_f32_e64 v0, v10, -v4
	v_mul_f32_e32 v10, v10, v3
	v_fmac_f32_e32 v0, v3, v9
	v_fmac_f32_e32 v10, v4, v9
	;; [unrolled: 1-line block ×4, first 2 shown]
	v_fma_f32 v9, -v2, v8, v0
	v_fmac_f32_e32 v10, v1, v8
	global_store_dwordx2 v[5:6], v[9:10], off
.LBB5_22:
	s_endpgm
	.section	.rodata,"a",@progbits
	.p2align	6, 0x0
	.amdhsa_kernel _ZN9rocsparseL12gemvi_kernelILj1024ELj64Ei21rocsparse_complex_numIfEEEvT1_S3_NS_24const_host_device_scalarIT2_EEPKS5_lS3_S8_PKS3_S6_PS5_21rocsparse_index_base_b
		.amdhsa_group_segment_fixed_size 8192
		.amdhsa_private_segment_fixed_size 0
		.amdhsa_kernarg_size 80
		.amdhsa_user_sgpr_count 6
		.amdhsa_user_sgpr_private_segment_buffer 1
		.amdhsa_user_sgpr_dispatch_ptr 0
		.amdhsa_user_sgpr_queue_ptr 0
		.amdhsa_user_sgpr_kernarg_segment_ptr 1
		.amdhsa_user_sgpr_dispatch_id 0
		.amdhsa_user_sgpr_flat_scratch_init 0
		.amdhsa_user_sgpr_private_segment_size 0
		.amdhsa_uses_dynamic_stack 0
		.amdhsa_system_sgpr_private_segment_wavefront_offset 0
		.amdhsa_system_sgpr_workgroup_id_x 1
		.amdhsa_system_sgpr_workgroup_id_y 0
		.amdhsa_system_sgpr_workgroup_id_z 0
		.amdhsa_system_sgpr_workgroup_info 0
		.amdhsa_system_vgpr_workitem_id 0
		.amdhsa_next_free_vgpr 29
		.amdhsa_next_free_sgpr 61
		.amdhsa_reserve_vcc 1
		.amdhsa_reserve_flat_scratch 0
		.amdhsa_float_round_mode_32 0
		.amdhsa_float_round_mode_16_64 0
		.amdhsa_float_denorm_mode_32 3
		.amdhsa_float_denorm_mode_16_64 3
		.amdhsa_dx10_clamp 1
		.amdhsa_ieee_mode 1
		.amdhsa_fp16_overflow 0
		.amdhsa_exception_fp_ieee_invalid_op 0
		.amdhsa_exception_fp_denorm_src 0
		.amdhsa_exception_fp_ieee_div_zero 0
		.amdhsa_exception_fp_ieee_overflow 0
		.amdhsa_exception_fp_ieee_underflow 0
		.amdhsa_exception_fp_ieee_inexact 0
		.amdhsa_exception_int_div_zero 0
	.end_amdhsa_kernel
	.section	.text._ZN9rocsparseL12gemvi_kernelILj1024ELj64Ei21rocsparse_complex_numIfEEEvT1_S3_NS_24const_host_device_scalarIT2_EEPKS5_lS3_S8_PKS3_S6_PS5_21rocsparse_index_base_b,"axG",@progbits,_ZN9rocsparseL12gemvi_kernelILj1024ELj64Ei21rocsparse_complex_numIfEEEvT1_S3_NS_24const_host_device_scalarIT2_EEPKS5_lS3_S8_PKS3_S6_PS5_21rocsparse_index_base_b,comdat
.Lfunc_end5:
	.size	_ZN9rocsparseL12gemvi_kernelILj1024ELj64Ei21rocsparse_complex_numIfEEEvT1_S3_NS_24const_host_device_scalarIT2_EEPKS5_lS3_S8_PKS3_S6_PS5_21rocsparse_index_base_b, .Lfunc_end5-_ZN9rocsparseL12gemvi_kernelILj1024ELj64Ei21rocsparse_complex_numIfEEEvT1_S3_NS_24const_host_device_scalarIT2_EEPKS5_lS3_S8_PKS3_S6_PS5_21rocsparse_index_base_b
                                        ; -- End function
	.set _ZN9rocsparseL12gemvi_kernelILj1024ELj64Ei21rocsparse_complex_numIfEEEvT1_S3_NS_24const_host_device_scalarIT2_EEPKS5_lS3_S8_PKS3_S6_PS5_21rocsparse_index_base_b.num_vgpr, 22
	.set _ZN9rocsparseL12gemvi_kernelILj1024ELj64Ei21rocsparse_complex_numIfEEEvT1_S3_NS_24const_host_device_scalarIT2_EEPKS5_lS3_S8_PKS3_S6_PS5_21rocsparse_index_base_b.num_agpr, 0
	.set _ZN9rocsparseL12gemvi_kernelILj1024ELj64Ei21rocsparse_complex_numIfEEEvT1_S3_NS_24const_host_device_scalarIT2_EEPKS5_lS3_S8_PKS3_S6_PS5_21rocsparse_index_base_b.numbered_sgpr, 20
	.set _ZN9rocsparseL12gemvi_kernelILj1024ELj64Ei21rocsparse_complex_numIfEEEvT1_S3_NS_24const_host_device_scalarIT2_EEPKS5_lS3_S8_PKS3_S6_PS5_21rocsparse_index_base_b.num_named_barrier, 0
	.set _ZN9rocsparseL12gemvi_kernelILj1024ELj64Ei21rocsparse_complex_numIfEEEvT1_S3_NS_24const_host_device_scalarIT2_EEPKS5_lS3_S8_PKS3_S6_PS5_21rocsparse_index_base_b.private_seg_size, 0
	.set _ZN9rocsparseL12gemvi_kernelILj1024ELj64Ei21rocsparse_complex_numIfEEEvT1_S3_NS_24const_host_device_scalarIT2_EEPKS5_lS3_S8_PKS3_S6_PS5_21rocsparse_index_base_b.uses_vcc, 1
	.set _ZN9rocsparseL12gemvi_kernelILj1024ELj64Ei21rocsparse_complex_numIfEEEvT1_S3_NS_24const_host_device_scalarIT2_EEPKS5_lS3_S8_PKS3_S6_PS5_21rocsparse_index_base_b.uses_flat_scratch, 0
	.set _ZN9rocsparseL12gemvi_kernelILj1024ELj64Ei21rocsparse_complex_numIfEEEvT1_S3_NS_24const_host_device_scalarIT2_EEPKS5_lS3_S8_PKS3_S6_PS5_21rocsparse_index_base_b.has_dyn_sized_stack, 0
	.set _ZN9rocsparseL12gemvi_kernelILj1024ELj64Ei21rocsparse_complex_numIfEEEvT1_S3_NS_24const_host_device_scalarIT2_EEPKS5_lS3_S8_PKS3_S6_PS5_21rocsparse_index_base_b.has_recursion, 0
	.set _ZN9rocsparseL12gemvi_kernelILj1024ELj64Ei21rocsparse_complex_numIfEEEvT1_S3_NS_24const_host_device_scalarIT2_EEPKS5_lS3_S8_PKS3_S6_PS5_21rocsparse_index_base_b.has_indirect_call, 0
	.section	.AMDGPU.csdata,"",@progbits
; Kernel info:
; codeLenInByte = 972
; TotalNumSgprs: 24
; NumVgprs: 22
; ScratchSize: 0
; MemoryBound: 0
; FloatMode: 240
; IeeeMode: 1
; LDSByteSize: 8192 bytes/workgroup (compile time only)
; SGPRBlocks: 8
; VGPRBlocks: 7
; NumSGPRsForWavesPerEU: 65
; NumVGPRsForWavesPerEU: 29
; Occupancy: 8
; WaveLimiterHint : 1
; COMPUTE_PGM_RSRC2:SCRATCH_EN: 0
; COMPUTE_PGM_RSRC2:USER_SGPR: 6
; COMPUTE_PGM_RSRC2:TRAP_HANDLER: 0
; COMPUTE_PGM_RSRC2:TGID_X_EN: 1
; COMPUTE_PGM_RSRC2:TGID_Y_EN: 0
; COMPUTE_PGM_RSRC2:TGID_Z_EN: 0
; COMPUTE_PGM_RSRC2:TIDIG_COMP_CNT: 0
	.section	.text._ZN9rocsparseL12gemvi_kernelILj1024ELj32Ei21rocsparse_complex_numIdEEEvT1_S3_NS_24const_host_device_scalarIT2_EEPKS5_lS3_S8_PKS3_S6_PS5_21rocsparse_index_base_b,"axG",@progbits,_ZN9rocsparseL12gemvi_kernelILj1024ELj32Ei21rocsparse_complex_numIdEEEvT1_S3_NS_24const_host_device_scalarIT2_EEPKS5_lS3_S8_PKS3_S6_PS5_21rocsparse_index_base_b,comdat
	.globl	_ZN9rocsparseL12gemvi_kernelILj1024ELj32Ei21rocsparse_complex_numIdEEEvT1_S3_NS_24const_host_device_scalarIT2_EEPKS5_lS3_S8_PKS3_S6_PS5_21rocsparse_index_base_b ; -- Begin function _ZN9rocsparseL12gemvi_kernelILj1024ELj32Ei21rocsparse_complex_numIdEEEvT1_S3_NS_24const_host_device_scalarIT2_EEPKS5_lS3_S8_PKS3_S6_PS5_21rocsparse_index_base_b
	.p2align	8
	.type	_ZN9rocsparseL12gemvi_kernelILj1024ELj32Ei21rocsparse_complex_numIdEEEvT1_S3_NS_24const_host_device_scalarIT2_EEPKS5_lS3_S8_PKS3_S6_PS5_21rocsparse_index_base_b,@function
_ZN9rocsparseL12gemvi_kernelILj1024ELj32Ei21rocsparse_complex_numIdEEEvT1_S3_NS_24const_host_device_scalarIT2_EEPKS5_lS3_S8_PKS3_S6_PS5_21rocsparse_index_base_b: ; @_ZN9rocsparseL12gemvi_kernelILj1024ELj32Ei21rocsparse_complex_numIdEEEvT1_S3_NS_24const_host_device_scalarIT2_EEPKS5_lS3_S8_PKS3_S6_PS5_21rocsparse_index_base_b
; %bb.0:
	s_load_dwordx2 s[0:1], s[4:5], 0x8
	s_load_dwordx2 s[2:3], s[4:5], 0x40
	s_load_dwordx2 s[12:13], s[4:5], 0x58
	s_add_u32 s7, s4, 8
	s_addc_u32 s8, s5, 0
	s_add_u32 s9, s4, 64
	s_addc_u32 s10, s5, 0
	s_waitcnt lgkmcnt(0)
	s_bitcmp1_b32 s13, 0
	s_cselect_b32 s1, s8, s1
	s_cselect_b32 s0, s7, s0
	v_mov_b32_e32 v1, s0
	v_mov_b32_e32 v2, s1
	flat_load_dwordx4 v[1:4], v[1:2]
	s_cselect_b32 s0, s10, s3
	s_cselect_b32 s1, s9, s2
	v_mov_b32_e32 v5, s1
	v_mov_b32_e32 v6, s0
	flat_load_dwordx4 v[5:8], v[5:6]
	s_waitcnt vmcnt(0) lgkmcnt(0)
	v_cmp_eq_f64_e32 vcc, 0, v[1:2]
	v_cmp_eq_f64_e64 s[0:1], 0, v[3:4]
	s_and_b64 s[8:9], vcc, s[0:1]
	s_mov_b64 s[0:1], -1
	s_and_saveexec_b64 s[2:3], s[8:9]
	s_cbranch_execz .LBB6_2
; %bb.1:
	v_cmp_neq_f64_e32 vcc, 1.0, v[5:6]
	v_cmp_neq_f64_e64 s[0:1], 0, v[7:8]
	s_or_b64 s[0:1], vcc, s[0:1]
	s_orn2_b64 s[0:1], s[0:1], exec
.LBB6_2:
	s_or_b64 exec, exec, s[2:3]
	s_and_saveexec_b64 s[2:3], s[0:1]
	s_cbranch_execz .LBB6_24
; %bb.3:
	s_load_dword s2, s[4:5], 0x0
	v_mov_b32_e32 v9, 0
	v_and_b32_e32 v18, 31, v0
	v_mov_b32_e32 v10, 0
	v_lshl_or_b32 v13, s6, 5, v18
	v_mov_b32_e32 v12, v10
	s_waitcnt lgkmcnt(0)
	v_cmp_le_i32_e64 s[0:1], s2, v13
	v_cmp_gt_i32_e32 vcc, s2, v13
	v_mov_b32_e32 v11, v9
	s_and_saveexec_b64 s[6:7], vcc
	s_cbranch_execz .LBB6_9
; %bb.4:
	s_load_dword s13, s[4:5], 0x28
	v_lshrrev_b32_e32 v19, 5, v0
	v_mov_b32_e32 v11, 0
	v_mov_b32_e32 v9, 0
	;; [unrolled: 1-line block ×4, first 2 shown]
	s_waitcnt lgkmcnt(0)
	v_cmp_gt_i32_e32 vcc, s13, v19
	s_and_saveexec_b64 s[14:15], vcc
	s_cbranch_execz .LBB6_8
; %bb.5:
	s_load_dwordx4 s[8:11], s[4:5], 0x18
	s_load_dwordx4 s[16:19], s[4:5], 0x30
	v_ashrrev_i32_e32 v14, 31, v13
	v_lshlrev_b64 v[9:10], 4, v[13:14]
	s_waitcnt lgkmcnt(0)
	v_mov_b32_e32 v11, s9
	v_add_co_u32_e32 v20, vcc, s8, v9
	v_lshrrev_b32_e32 v9, 5, v0
	v_addc_co_u32_e32 v21, vcc, v11, v10, vcc
	v_lshlrev_b32_e32 v10, 4, v9
	v_mov_b32_e32 v11, s17
	v_add_co_u32_e32 v10, vcc, s16, v10
	v_addc_co_u32_e32 v11, vcc, 0, v11, vcc
	v_add_co_u32_e32 v14, vcc, 8, v10
	v_addc_co_u32_e32 v15, vcc, 0, v11, vcc
	v_lshlrev_b32_e32 v9, 2, v9
	v_mov_b32_e32 v10, s19
	v_add_co_u32_e32 v16, vcc, s18, v9
	v_mov_b32_e32 v11, 0
	v_addc_co_u32_e32 v17, vcc, 0, v10, vcc
	v_mov_b32_e32 v12, 0
	v_mov_b32_e32 v9, v11
	s_mov_b64 s[8:9], 0
	v_mov_b32_e32 v10, v12
.LBB6_6:                                ; =>This Inner Loop Header: Depth=1
	global_load_dword v26, v[16:17], off
	global_load_dwordx4 v[22:25], v[14:15], off offset:-8
	v_add_u32_e32 v19, 32, v19
	s_waitcnt vmcnt(1)
	v_subrev_u32_e32 v26, s12, v26
	v_ashrrev_i32_e32 v28, 31, v26
	v_mul_lo_u32 v29, s11, v26
	v_mad_u64_u32 v[26:27], s[2:3], s10, v26, 0
	v_mul_lo_u32 v28, s10, v28
	v_cmp_le_i32_e64 s[2:3], s13, v19
	s_or_b64 s[8:9], s[2:3], s[8:9]
	v_add3_u32 v27, v27, v28, v29
	v_lshlrev_b64 v[26:27], 4, v[26:27]
	v_add_co_u32_e32 v26, vcc, v20, v26
	v_addc_co_u32_e32 v27, vcc, v21, v27, vcc
	global_load_dwordx4 v[26:29], v[26:27], off
	v_add_co_u32_e32 v14, vcc, 0x200, v14
	v_addc_co_u32_e32 v15, vcc, 0, v15, vcc
	v_add_co_u32_e32 v16, vcc, 0x80, v16
	v_addc_co_u32_e32 v17, vcc, 0, v17, vcc
	s_waitcnt vmcnt(0)
	v_fma_f64 v[9:10], v[22:23], v[26:27], v[9:10]
	v_fma_f64 v[11:12], v[24:25], v[26:27], v[11:12]
	v_fma_f64 v[9:10], -v[24:25], v[28:29], v[9:10]
	v_fma_f64 v[11:12], v[22:23], v[28:29], v[11:12]
	s_andn2_b64 exec, exec, s[8:9]
	s_cbranch_execnz .LBB6_6
; %bb.7:
	s_or_b64 exec, exec, s[8:9]
.LBB6_8:
	s_or_b64 exec, exec, s[14:15]
.LBB6_9:
	s_or_b64 exec, exec, s[6:7]
	s_movk_i32 s2, 0x200
	v_lshlrev_b32_e32 v14, 4, v0
	v_cmp_gt_u32_e32 vcc, s2, v0
	ds_write_b128 v14, v[9:12]
	s_waitcnt lgkmcnt(0)
	s_barrier
	s_and_saveexec_b64 s[2:3], vcc
	s_cbranch_execz .LBB6_11
; %bb.10:
	ds_read_b128 v[9:12], v14 offset:8192
	ds_read_b128 v[19:22], v14
	s_waitcnt lgkmcnt(0)
	v_add_f64 v[9:10], v[9:10], v[19:20]
	v_add_f64 v[11:12], v[11:12], v[21:22]
	ds_write_b128 v14, v[9:12]
.LBB6_11:
	s_or_b64 exec, exec, s[2:3]
	s_movk_i32 s2, 0x100
	v_cmp_gt_u32_e32 vcc, s2, v0
	s_waitcnt lgkmcnt(0)
	s_barrier
	s_and_saveexec_b64 s[2:3], vcc
	s_cbranch_execz .LBB6_13
; %bb.12:
	ds_read_b128 v[9:12], v14 offset:4096
	ds_read_b128 v[19:22], v14
	s_waitcnt lgkmcnt(0)
	v_add_f64 v[9:10], v[9:10], v[19:20]
	v_add_f64 v[11:12], v[11:12], v[21:22]
	ds_write_b128 v14, v[9:12]
.LBB6_13:
	s_or_b64 exec, exec, s[2:3]
	s_movk_i32 s2, 0x80
	v_cmp_gt_u32_e32 vcc, s2, v0
	s_waitcnt lgkmcnt(0)
	s_barrier
	s_and_saveexec_b64 s[2:3], vcc
	s_cbranch_execz .LBB6_15
; %bb.14:
	ds_read_b128 v[9:12], v14 offset:2048
	ds_read_b128 v[19:22], v14
	s_waitcnt lgkmcnt(0)
	v_add_f64 v[9:10], v[9:10], v[19:20]
	v_add_f64 v[11:12], v[11:12], v[21:22]
	ds_write_b128 v14, v[9:12]
.LBB6_15:
	s_or_b64 exec, exec, s[2:3]
	v_cmp_gt_u32_e32 vcc, 64, v0
	s_waitcnt lgkmcnt(0)
	s_barrier
	s_and_saveexec_b64 s[2:3], vcc
	s_cbranch_execz .LBB6_17
; %bb.16:
	ds_read_b128 v[9:12], v14 offset:1024
	ds_read_b128 v[19:22], v14
	s_waitcnt lgkmcnt(0)
	v_add_f64 v[9:10], v[9:10], v[19:20]
	v_add_f64 v[11:12], v[11:12], v[21:22]
	ds_write_b128 v14, v[9:12]
.LBB6_17:
	s_or_b64 exec, exec, s[2:3]
	v_cmp_lt_u32_e32 vcc, 31, v0
	v_cmp_gt_u32_e64 s[2:3], 32, v0
	v_lshlrev_b32_e32 v0, 4, v18
	s_waitcnt lgkmcnt(0)
	s_barrier
	s_and_saveexec_b64 s[6:7], s[2:3]
	s_cbranch_execz .LBB6_19
; %bb.18:
	ds_read_b128 v[9:12], v0 offset:512
	ds_read_b128 v[15:18], v14
	s_waitcnt lgkmcnt(0)
	v_add_f64 v[9:10], v[9:10], v[15:16]
	v_add_f64 v[11:12], v[11:12], v[17:18]
	ds_write_b128 v14, v[9:12]
.LBB6_19:
	s_or_b64 exec, exec, s[6:7]
	s_nor_b64 s[0:1], vcc, s[0:1]
	s_and_b64 exec, exec, s[0:1]
	s_cbranch_execz .LBB6_24
; %bb.20:
	v_cmp_eq_f64_e32 vcc, 0, v[5:6]
	v_cmp_eq_f64_e64 s[0:1], 0, v[7:8]
	s_load_dwordx2 s[2:3], s[4:5], 0x50
	ds_read_b128 v[9:12], v0
	v_ashrrev_i32_e32 v14, 31, v13
	s_and_b64 s[0:1], vcc, s[0:1]
	s_and_saveexec_b64 s[4:5], s[0:1]
	s_xor_b64 s[0:1], exec, s[4:5]
	s_cbranch_execz .LBB6_22
; %bb.21:
	s_waitcnt lgkmcnt(0)
	v_mul_f64 v[5:6], v[11:12], -v[3:4]
	v_mul_f64 v[7:8], v[1:2], v[11:12]
	v_fma_f64 v[0:1], v[1:2], v[9:10], v[5:6]
	v_fma_f64 v[2:3], v[3:4], v[9:10], v[7:8]
	v_lshlrev_b64 v[4:5], 4, v[13:14]
	v_mov_b32_e32 v6, s3
	v_add_co_u32_e32 v4, vcc, s2, v4
	v_addc_co_u32_e32 v5, vcc, v6, v5, vcc
                                        ; implicit-def: $vgpr13
                                        ; implicit-def: $vgpr9_vgpr10
	global_store_dwordx4 v[4:5], v[0:3], off
                                        ; implicit-def: $vgpr7_vgpr8
                                        ; implicit-def: $vgpr1_vgpr2
.LBB6_22:
	s_andn2_saveexec_b64 s[0:1], s[0:1]
	s_cbranch_execz .LBB6_24
; %bb.23:
	v_lshlrev_b64 v[13:14], 4, v[13:14]
	s_waitcnt lgkmcnt(0)
	v_mov_b32_e32 v0, s3
	v_add_co_u32_e32 v17, vcc, s2, v13
	v_addc_co_u32_e32 v18, vcc, v0, v14, vcc
	global_load_dwordx4 v[13:16], v[17:18], off
	s_waitcnt vmcnt(0)
	v_mul_f64 v[19:20], v[15:16], -v[7:8]
	v_mul_f64 v[15:16], v[5:6], v[15:16]
	v_fma_f64 v[5:6], v[5:6], v[13:14], v[19:20]
	v_fma_f64 v[7:8], v[7:8], v[13:14], v[15:16]
	;; [unrolled: 1-line block ×4, first 2 shown]
	v_fma_f64 v[3:4], -v[3:4], v[11:12], v[5:6]
	v_fma_f64 v[5:6], v[1:2], v[11:12], v[7:8]
	global_store_dwordx4 v[17:18], v[3:6], off
.LBB6_24:
	s_endpgm
	.section	.rodata,"a",@progbits
	.p2align	6, 0x0
	.amdhsa_kernel _ZN9rocsparseL12gemvi_kernelILj1024ELj32Ei21rocsparse_complex_numIdEEEvT1_S3_NS_24const_host_device_scalarIT2_EEPKS5_lS3_S8_PKS3_S6_PS5_21rocsparse_index_base_b
		.amdhsa_group_segment_fixed_size 16384
		.amdhsa_private_segment_fixed_size 0
		.amdhsa_kernarg_size 96
		.amdhsa_user_sgpr_count 6
		.amdhsa_user_sgpr_private_segment_buffer 1
		.amdhsa_user_sgpr_dispatch_ptr 0
		.amdhsa_user_sgpr_queue_ptr 0
		.amdhsa_user_sgpr_kernarg_segment_ptr 1
		.amdhsa_user_sgpr_dispatch_id 0
		.amdhsa_user_sgpr_flat_scratch_init 0
		.amdhsa_user_sgpr_private_segment_size 0
		.amdhsa_uses_dynamic_stack 0
		.amdhsa_system_sgpr_private_segment_wavefront_offset 0
		.amdhsa_system_sgpr_workgroup_id_x 1
		.amdhsa_system_sgpr_workgroup_id_y 0
		.amdhsa_system_sgpr_workgroup_id_z 0
		.amdhsa_system_sgpr_workgroup_info 0
		.amdhsa_system_vgpr_workitem_id 0
		.amdhsa_next_free_vgpr 30
		.amdhsa_next_free_sgpr 61
		.amdhsa_reserve_vcc 1
		.amdhsa_reserve_flat_scratch 0
		.amdhsa_float_round_mode_32 0
		.amdhsa_float_round_mode_16_64 0
		.amdhsa_float_denorm_mode_32 3
		.amdhsa_float_denorm_mode_16_64 3
		.amdhsa_dx10_clamp 1
		.amdhsa_ieee_mode 1
		.amdhsa_fp16_overflow 0
		.amdhsa_exception_fp_ieee_invalid_op 0
		.amdhsa_exception_fp_denorm_src 0
		.amdhsa_exception_fp_ieee_div_zero 0
		.amdhsa_exception_fp_ieee_overflow 0
		.amdhsa_exception_fp_ieee_underflow 0
		.amdhsa_exception_fp_ieee_inexact 0
		.amdhsa_exception_int_div_zero 0
	.end_amdhsa_kernel
	.section	.text._ZN9rocsparseL12gemvi_kernelILj1024ELj32Ei21rocsparse_complex_numIdEEEvT1_S3_NS_24const_host_device_scalarIT2_EEPKS5_lS3_S8_PKS3_S6_PS5_21rocsparse_index_base_b,"axG",@progbits,_ZN9rocsparseL12gemvi_kernelILj1024ELj32Ei21rocsparse_complex_numIdEEEvT1_S3_NS_24const_host_device_scalarIT2_EEPKS5_lS3_S8_PKS3_S6_PS5_21rocsparse_index_base_b,comdat
.Lfunc_end6:
	.size	_ZN9rocsparseL12gemvi_kernelILj1024ELj32Ei21rocsparse_complex_numIdEEEvT1_S3_NS_24const_host_device_scalarIT2_EEPKS5_lS3_S8_PKS3_S6_PS5_21rocsparse_index_base_b, .Lfunc_end6-_ZN9rocsparseL12gemvi_kernelILj1024ELj32Ei21rocsparse_complex_numIdEEEvT1_S3_NS_24const_host_device_scalarIT2_EEPKS5_lS3_S8_PKS3_S6_PS5_21rocsparse_index_base_b
                                        ; -- End function
	.set _ZN9rocsparseL12gemvi_kernelILj1024ELj32Ei21rocsparse_complex_numIdEEEvT1_S3_NS_24const_host_device_scalarIT2_EEPKS5_lS3_S8_PKS3_S6_PS5_21rocsparse_index_base_b.num_vgpr, 30
	.set _ZN9rocsparseL12gemvi_kernelILj1024ELj32Ei21rocsparse_complex_numIdEEEvT1_S3_NS_24const_host_device_scalarIT2_EEPKS5_lS3_S8_PKS3_S6_PS5_21rocsparse_index_base_b.num_agpr, 0
	.set _ZN9rocsparseL12gemvi_kernelILj1024ELj32Ei21rocsparse_complex_numIdEEEvT1_S3_NS_24const_host_device_scalarIT2_EEPKS5_lS3_S8_PKS3_S6_PS5_21rocsparse_index_base_b.numbered_sgpr, 20
	.set _ZN9rocsparseL12gemvi_kernelILj1024ELj32Ei21rocsparse_complex_numIdEEEvT1_S3_NS_24const_host_device_scalarIT2_EEPKS5_lS3_S8_PKS3_S6_PS5_21rocsparse_index_base_b.num_named_barrier, 0
	.set _ZN9rocsparseL12gemvi_kernelILj1024ELj32Ei21rocsparse_complex_numIdEEEvT1_S3_NS_24const_host_device_scalarIT2_EEPKS5_lS3_S8_PKS3_S6_PS5_21rocsparse_index_base_b.private_seg_size, 0
	.set _ZN9rocsparseL12gemvi_kernelILj1024ELj32Ei21rocsparse_complex_numIdEEEvT1_S3_NS_24const_host_device_scalarIT2_EEPKS5_lS3_S8_PKS3_S6_PS5_21rocsparse_index_base_b.uses_vcc, 1
	.set _ZN9rocsparseL12gemvi_kernelILj1024ELj32Ei21rocsparse_complex_numIdEEEvT1_S3_NS_24const_host_device_scalarIT2_EEPKS5_lS3_S8_PKS3_S6_PS5_21rocsparse_index_base_b.uses_flat_scratch, 0
	.set _ZN9rocsparseL12gemvi_kernelILj1024ELj32Ei21rocsparse_complex_numIdEEEvT1_S3_NS_24const_host_device_scalarIT2_EEPKS5_lS3_S8_PKS3_S6_PS5_21rocsparse_index_base_b.has_dyn_sized_stack, 0
	.set _ZN9rocsparseL12gemvi_kernelILj1024ELj32Ei21rocsparse_complex_numIdEEEvT1_S3_NS_24const_host_device_scalarIT2_EEPKS5_lS3_S8_PKS3_S6_PS5_21rocsparse_index_base_b.has_recursion, 0
	.set _ZN9rocsparseL12gemvi_kernelILj1024ELj32Ei21rocsparse_complex_numIdEEEvT1_S3_NS_24const_host_device_scalarIT2_EEPKS5_lS3_S8_PKS3_S6_PS5_21rocsparse_index_base_b.has_indirect_call, 0
	.section	.AMDGPU.csdata,"",@progbits
; Kernel info:
; codeLenInByte = 1172
; TotalNumSgprs: 24
; NumVgprs: 30
; ScratchSize: 0
; MemoryBound: 0
; FloatMode: 240
; IeeeMode: 1
; LDSByteSize: 16384 bytes/workgroup (compile time only)
; SGPRBlocks: 8
; VGPRBlocks: 7
; NumSGPRsForWavesPerEU: 65
; NumVGPRsForWavesPerEU: 30
; Occupancy: 8
; WaveLimiterHint : 1
; COMPUTE_PGM_RSRC2:SCRATCH_EN: 0
; COMPUTE_PGM_RSRC2:USER_SGPR: 6
; COMPUTE_PGM_RSRC2:TRAP_HANDLER: 0
; COMPUTE_PGM_RSRC2:TGID_X_EN: 1
; COMPUTE_PGM_RSRC2:TGID_Y_EN: 0
; COMPUTE_PGM_RSRC2:TGID_Z_EN: 0
; COMPUTE_PGM_RSRC2:TIDIG_COMP_CNT: 0
	.section	.text._ZN9rocsparseL12gemvi_kernelILj1024ELj64Ei21rocsparse_complex_numIdEEEvT1_S3_NS_24const_host_device_scalarIT2_EEPKS5_lS3_S8_PKS3_S6_PS5_21rocsparse_index_base_b,"axG",@progbits,_ZN9rocsparseL12gemvi_kernelILj1024ELj64Ei21rocsparse_complex_numIdEEEvT1_S3_NS_24const_host_device_scalarIT2_EEPKS5_lS3_S8_PKS3_S6_PS5_21rocsparse_index_base_b,comdat
	.globl	_ZN9rocsparseL12gemvi_kernelILj1024ELj64Ei21rocsparse_complex_numIdEEEvT1_S3_NS_24const_host_device_scalarIT2_EEPKS5_lS3_S8_PKS3_S6_PS5_21rocsparse_index_base_b ; -- Begin function _ZN9rocsparseL12gemvi_kernelILj1024ELj64Ei21rocsparse_complex_numIdEEEvT1_S3_NS_24const_host_device_scalarIT2_EEPKS5_lS3_S8_PKS3_S6_PS5_21rocsparse_index_base_b
	.p2align	8
	.type	_ZN9rocsparseL12gemvi_kernelILj1024ELj64Ei21rocsparse_complex_numIdEEEvT1_S3_NS_24const_host_device_scalarIT2_EEPKS5_lS3_S8_PKS3_S6_PS5_21rocsparse_index_base_b,@function
_ZN9rocsparseL12gemvi_kernelILj1024ELj64Ei21rocsparse_complex_numIdEEEvT1_S3_NS_24const_host_device_scalarIT2_EEPKS5_lS3_S8_PKS3_S6_PS5_21rocsparse_index_base_b: ; @_ZN9rocsparseL12gemvi_kernelILj1024ELj64Ei21rocsparse_complex_numIdEEEvT1_S3_NS_24const_host_device_scalarIT2_EEPKS5_lS3_S8_PKS3_S6_PS5_21rocsparse_index_base_b
; %bb.0:
	s_load_dwordx2 s[0:1], s[4:5], 0x8
	s_load_dwordx2 s[2:3], s[4:5], 0x40
	s_load_dwordx2 s[12:13], s[4:5], 0x58
	s_add_u32 s7, s4, 8
	s_addc_u32 s8, s5, 0
	s_add_u32 s9, s4, 64
	s_addc_u32 s10, s5, 0
	s_waitcnt lgkmcnt(0)
	s_bitcmp1_b32 s13, 0
	s_cselect_b32 s1, s8, s1
	s_cselect_b32 s0, s7, s0
	v_mov_b32_e32 v1, s0
	v_mov_b32_e32 v2, s1
	flat_load_dwordx4 v[1:4], v[1:2]
	s_cselect_b32 s0, s10, s3
	s_cselect_b32 s1, s9, s2
	v_mov_b32_e32 v5, s1
	v_mov_b32_e32 v6, s0
	flat_load_dwordx4 v[5:8], v[5:6]
	s_waitcnt vmcnt(0) lgkmcnt(0)
	v_cmp_eq_f64_e32 vcc, 0, v[1:2]
	v_cmp_eq_f64_e64 s[0:1], 0, v[3:4]
	s_and_b64 s[8:9], vcc, s[0:1]
	s_mov_b64 s[0:1], -1
	s_and_saveexec_b64 s[2:3], s[8:9]
	s_cbranch_execz .LBB7_2
; %bb.1:
	v_cmp_neq_f64_e32 vcc, 1.0, v[5:6]
	v_cmp_neq_f64_e64 s[0:1], 0, v[7:8]
	s_or_b64 s[0:1], vcc, s[0:1]
	s_orn2_b64 s[0:1], s[0:1], exec
.LBB7_2:
	s_or_b64 exec, exec, s[2:3]
	s_and_saveexec_b64 s[2:3], s[0:1]
	s_cbranch_execz .LBB7_22
; %bb.3:
	s_load_dword s2, s[4:5], 0x0
	v_mov_b32_e32 v9, 0
	v_and_b32_e32 v18, 63, v0
	v_mov_b32_e32 v10, 0
	v_lshl_or_b32 v13, s6, 6, v18
	v_mov_b32_e32 v12, v10
	s_waitcnt lgkmcnt(0)
	v_cmp_le_i32_e64 s[0:1], s2, v13
	v_cmp_gt_i32_e32 vcc, s2, v13
	v_mov_b32_e32 v11, v9
	s_and_saveexec_b64 s[6:7], vcc
	s_cbranch_execz .LBB7_9
; %bb.4:
	s_load_dword s13, s[4:5], 0x28
	v_lshrrev_b32_e32 v19, 6, v0
	v_mov_b32_e32 v11, 0
	v_mov_b32_e32 v9, 0
	v_mov_b32_e32 v12, 0
	v_mov_b32_e32 v10, 0
	s_waitcnt lgkmcnt(0)
	v_cmp_gt_i32_e32 vcc, s13, v19
	s_and_saveexec_b64 s[14:15], vcc
	s_cbranch_execz .LBB7_8
; %bb.5:
	s_load_dwordx4 s[8:11], s[4:5], 0x18
	s_load_dwordx4 s[16:19], s[4:5], 0x30
	v_ashrrev_i32_e32 v14, 31, v13
	v_lshlrev_b64 v[9:10], 4, v[13:14]
	s_waitcnt lgkmcnt(0)
	v_mov_b32_e32 v11, s9
	v_add_co_u32_e32 v20, vcc, s8, v9
	v_lshrrev_b32_e32 v9, 6, v0
	v_addc_co_u32_e32 v21, vcc, v11, v10, vcc
	v_lshlrev_b32_e32 v10, 4, v9
	v_mov_b32_e32 v11, s17
	v_add_co_u32_e32 v10, vcc, s16, v10
	v_addc_co_u32_e32 v11, vcc, 0, v11, vcc
	v_add_co_u32_e32 v14, vcc, 8, v10
	v_addc_co_u32_e32 v15, vcc, 0, v11, vcc
	v_lshlrev_b32_e32 v9, 2, v9
	v_mov_b32_e32 v10, s19
	v_add_co_u32_e32 v16, vcc, s18, v9
	v_mov_b32_e32 v11, 0
	v_addc_co_u32_e32 v17, vcc, 0, v10, vcc
	v_mov_b32_e32 v12, 0
	v_mov_b32_e32 v9, v11
	s_mov_b64 s[8:9], 0
	v_mov_b32_e32 v10, v12
.LBB7_6:                                ; =>This Inner Loop Header: Depth=1
	global_load_dword v26, v[16:17], off
	global_load_dwordx4 v[22:25], v[14:15], off offset:-8
	v_add_u32_e32 v19, 16, v19
	s_waitcnt vmcnt(1)
	v_subrev_u32_e32 v26, s12, v26
	v_ashrrev_i32_e32 v28, 31, v26
	v_mul_lo_u32 v29, s11, v26
	v_mad_u64_u32 v[26:27], s[2:3], s10, v26, 0
	v_mul_lo_u32 v28, s10, v28
	v_add_co_u32_e64 v16, s[2:3], 64, v16
	v_addc_co_u32_e64 v17, s[2:3], 0, v17, s[2:3]
	v_add3_u32 v27, v27, v28, v29
	v_lshlrev_b64 v[26:27], 4, v[26:27]
	v_cmp_le_i32_e64 s[2:3], s13, v19
	v_add_co_u32_e32 v26, vcc, v20, v26
	v_addc_co_u32_e32 v27, vcc, v21, v27, vcc
	global_load_dwordx4 v[26:29], v[26:27], off
	v_add_co_u32_e32 v14, vcc, 0x100, v14
	s_or_b64 s[8:9], s[2:3], s[8:9]
	v_addc_co_u32_e32 v15, vcc, 0, v15, vcc
	s_waitcnt vmcnt(0)
	v_fma_f64 v[9:10], v[22:23], v[26:27], v[9:10]
	v_fma_f64 v[11:12], v[24:25], v[26:27], v[11:12]
	v_fma_f64 v[9:10], -v[24:25], v[28:29], v[9:10]
	v_fma_f64 v[11:12], v[22:23], v[28:29], v[11:12]
	s_andn2_b64 exec, exec, s[8:9]
	s_cbranch_execnz .LBB7_6
; %bb.7:
	s_or_b64 exec, exec, s[8:9]
.LBB7_8:
	s_or_b64 exec, exec, s[14:15]
.LBB7_9:
	s_or_b64 exec, exec, s[6:7]
	s_movk_i32 s2, 0x200
	v_lshlrev_b32_e32 v14, 4, v0
	v_cmp_gt_u32_e32 vcc, s2, v0
	ds_write_b128 v14, v[9:12]
	s_waitcnt lgkmcnt(0)
	s_barrier
	s_and_saveexec_b64 s[2:3], vcc
	s_cbranch_execz .LBB7_11
; %bb.10:
	ds_read_b128 v[9:12], v14 offset:8192
	ds_read_b128 v[19:22], v14
	s_waitcnt lgkmcnt(0)
	v_add_f64 v[9:10], v[9:10], v[19:20]
	v_add_f64 v[11:12], v[11:12], v[21:22]
	ds_write_b128 v14, v[9:12]
.LBB7_11:
	s_or_b64 exec, exec, s[2:3]
	s_movk_i32 s2, 0x100
	v_cmp_gt_u32_e32 vcc, s2, v0
	s_waitcnt lgkmcnt(0)
	s_barrier
	s_and_saveexec_b64 s[2:3], vcc
	s_cbranch_execz .LBB7_13
; %bb.12:
	ds_read_b128 v[9:12], v14 offset:4096
	ds_read_b128 v[19:22], v14
	s_waitcnt lgkmcnt(0)
	v_add_f64 v[9:10], v[9:10], v[19:20]
	v_add_f64 v[11:12], v[11:12], v[21:22]
	ds_write_b128 v14, v[9:12]
.LBB7_13:
	s_or_b64 exec, exec, s[2:3]
	s_movk_i32 s2, 0x80
	v_cmp_gt_u32_e32 vcc, s2, v0
	s_waitcnt lgkmcnt(0)
	s_barrier
	s_and_saveexec_b64 s[2:3], vcc
	s_cbranch_execz .LBB7_15
; %bb.14:
	ds_read_b128 v[9:12], v14 offset:2048
	ds_read_b128 v[19:22], v14
	s_waitcnt lgkmcnt(0)
	v_add_f64 v[9:10], v[9:10], v[19:20]
	v_add_f64 v[11:12], v[11:12], v[21:22]
	ds_write_b128 v14, v[9:12]
.LBB7_15:
	s_or_b64 exec, exec, s[2:3]
	v_cmp_lt_u32_e32 vcc, 63, v0
	v_cmp_gt_u32_e64 s[2:3], 64, v0
	v_lshlrev_b32_e32 v0, 4, v18
	s_waitcnt lgkmcnt(0)
	s_barrier
	s_and_saveexec_b64 s[6:7], s[2:3]
	s_cbranch_execz .LBB7_17
; %bb.16:
	ds_read_b128 v[9:12], v0 offset:1024
	ds_read_b128 v[15:18], v14
	s_waitcnt lgkmcnt(0)
	v_add_f64 v[9:10], v[9:10], v[15:16]
	v_add_f64 v[11:12], v[11:12], v[17:18]
	ds_write_b128 v14, v[9:12]
.LBB7_17:
	s_or_b64 exec, exec, s[6:7]
	s_nor_b64 s[0:1], vcc, s[0:1]
	s_and_b64 exec, exec, s[0:1]
	s_cbranch_execz .LBB7_22
; %bb.18:
	v_cmp_eq_f64_e32 vcc, 0, v[5:6]
	v_cmp_eq_f64_e64 s[0:1], 0, v[7:8]
	s_load_dwordx2 s[2:3], s[4:5], 0x50
	ds_read_b128 v[9:12], v0
	v_ashrrev_i32_e32 v14, 31, v13
	s_and_b64 s[0:1], vcc, s[0:1]
	s_and_saveexec_b64 s[4:5], s[0:1]
	s_xor_b64 s[0:1], exec, s[4:5]
	s_cbranch_execz .LBB7_20
; %bb.19:
	s_waitcnt lgkmcnt(0)
	v_mul_f64 v[5:6], v[11:12], -v[3:4]
	v_mul_f64 v[7:8], v[1:2], v[11:12]
	v_fma_f64 v[0:1], v[1:2], v[9:10], v[5:6]
	v_fma_f64 v[2:3], v[3:4], v[9:10], v[7:8]
	v_lshlrev_b64 v[4:5], 4, v[13:14]
	v_mov_b32_e32 v6, s3
	v_add_co_u32_e32 v4, vcc, s2, v4
	v_addc_co_u32_e32 v5, vcc, v6, v5, vcc
                                        ; implicit-def: $vgpr13
                                        ; implicit-def: $vgpr9_vgpr10
	global_store_dwordx4 v[4:5], v[0:3], off
                                        ; implicit-def: $vgpr7_vgpr8
                                        ; implicit-def: $vgpr1_vgpr2
.LBB7_20:
	s_andn2_saveexec_b64 s[0:1], s[0:1]
	s_cbranch_execz .LBB7_22
; %bb.21:
	v_lshlrev_b64 v[13:14], 4, v[13:14]
	s_waitcnt lgkmcnt(0)
	v_mov_b32_e32 v0, s3
	v_add_co_u32_e32 v17, vcc, s2, v13
	v_addc_co_u32_e32 v18, vcc, v0, v14, vcc
	global_load_dwordx4 v[13:16], v[17:18], off
	s_waitcnt vmcnt(0)
	v_mul_f64 v[19:20], v[15:16], -v[7:8]
	v_mul_f64 v[15:16], v[5:6], v[15:16]
	v_fma_f64 v[5:6], v[5:6], v[13:14], v[19:20]
	v_fma_f64 v[7:8], v[7:8], v[13:14], v[15:16]
	;; [unrolled: 1-line block ×4, first 2 shown]
	v_fma_f64 v[3:4], -v[3:4], v[11:12], v[5:6]
	v_fma_f64 v[5:6], v[1:2], v[11:12], v[7:8]
	global_store_dwordx4 v[17:18], v[3:6], off
.LBB7_22:
	s_endpgm
	.section	.rodata,"a",@progbits
	.p2align	6, 0x0
	.amdhsa_kernel _ZN9rocsparseL12gemvi_kernelILj1024ELj64Ei21rocsparse_complex_numIdEEEvT1_S3_NS_24const_host_device_scalarIT2_EEPKS5_lS3_S8_PKS3_S6_PS5_21rocsparse_index_base_b
		.amdhsa_group_segment_fixed_size 16384
		.amdhsa_private_segment_fixed_size 0
		.amdhsa_kernarg_size 96
		.amdhsa_user_sgpr_count 6
		.amdhsa_user_sgpr_private_segment_buffer 1
		.amdhsa_user_sgpr_dispatch_ptr 0
		.amdhsa_user_sgpr_queue_ptr 0
		.amdhsa_user_sgpr_kernarg_segment_ptr 1
		.amdhsa_user_sgpr_dispatch_id 0
		.amdhsa_user_sgpr_flat_scratch_init 0
		.amdhsa_user_sgpr_private_segment_size 0
		.amdhsa_uses_dynamic_stack 0
		.amdhsa_system_sgpr_private_segment_wavefront_offset 0
		.amdhsa_system_sgpr_workgroup_id_x 1
		.amdhsa_system_sgpr_workgroup_id_y 0
		.amdhsa_system_sgpr_workgroup_id_z 0
		.amdhsa_system_sgpr_workgroup_info 0
		.amdhsa_system_vgpr_workitem_id 0
		.amdhsa_next_free_vgpr 30
		.amdhsa_next_free_sgpr 61
		.amdhsa_reserve_vcc 1
		.amdhsa_reserve_flat_scratch 0
		.amdhsa_float_round_mode_32 0
		.amdhsa_float_round_mode_16_64 0
		.amdhsa_float_denorm_mode_32 3
		.amdhsa_float_denorm_mode_16_64 3
		.amdhsa_dx10_clamp 1
		.amdhsa_ieee_mode 1
		.amdhsa_fp16_overflow 0
		.amdhsa_exception_fp_ieee_invalid_op 0
		.amdhsa_exception_fp_denorm_src 0
		.amdhsa_exception_fp_ieee_div_zero 0
		.amdhsa_exception_fp_ieee_overflow 0
		.amdhsa_exception_fp_ieee_underflow 0
		.amdhsa_exception_fp_ieee_inexact 0
		.amdhsa_exception_int_div_zero 0
	.end_amdhsa_kernel
	.section	.text._ZN9rocsparseL12gemvi_kernelILj1024ELj64Ei21rocsparse_complex_numIdEEEvT1_S3_NS_24const_host_device_scalarIT2_EEPKS5_lS3_S8_PKS3_S6_PS5_21rocsparse_index_base_b,"axG",@progbits,_ZN9rocsparseL12gemvi_kernelILj1024ELj64Ei21rocsparse_complex_numIdEEEvT1_S3_NS_24const_host_device_scalarIT2_EEPKS5_lS3_S8_PKS3_S6_PS5_21rocsparse_index_base_b,comdat
.Lfunc_end7:
	.size	_ZN9rocsparseL12gemvi_kernelILj1024ELj64Ei21rocsparse_complex_numIdEEEvT1_S3_NS_24const_host_device_scalarIT2_EEPKS5_lS3_S8_PKS3_S6_PS5_21rocsparse_index_base_b, .Lfunc_end7-_ZN9rocsparseL12gemvi_kernelILj1024ELj64Ei21rocsparse_complex_numIdEEEvT1_S3_NS_24const_host_device_scalarIT2_EEPKS5_lS3_S8_PKS3_S6_PS5_21rocsparse_index_base_b
                                        ; -- End function
	.set _ZN9rocsparseL12gemvi_kernelILj1024ELj64Ei21rocsparse_complex_numIdEEEvT1_S3_NS_24const_host_device_scalarIT2_EEPKS5_lS3_S8_PKS3_S6_PS5_21rocsparse_index_base_b.num_vgpr, 30
	.set _ZN9rocsparseL12gemvi_kernelILj1024ELj64Ei21rocsparse_complex_numIdEEEvT1_S3_NS_24const_host_device_scalarIT2_EEPKS5_lS3_S8_PKS3_S6_PS5_21rocsparse_index_base_b.num_agpr, 0
	.set _ZN9rocsparseL12gemvi_kernelILj1024ELj64Ei21rocsparse_complex_numIdEEEvT1_S3_NS_24const_host_device_scalarIT2_EEPKS5_lS3_S8_PKS3_S6_PS5_21rocsparse_index_base_b.numbered_sgpr, 20
	.set _ZN9rocsparseL12gemvi_kernelILj1024ELj64Ei21rocsparse_complex_numIdEEEvT1_S3_NS_24const_host_device_scalarIT2_EEPKS5_lS3_S8_PKS3_S6_PS5_21rocsparse_index_base_b.num_named_barrier, 0
	.set _ZN9rocsparseL12gemvi_kernelILj1024ELj64Ei21rocsparse_complex_numIdEEEvT1_S3_NS_24const_host_device_scalarIT2_EEPKS5_lS3_S8_PKS3_S6_PS5_21rocsparse_index_base_b.private_seg_size, 0
	.set _ZN9rocsparseL12gemvi_kernelILj1024ELj64Ei21rocsparse_complex_numIdEEEvT1_S3_NS_24const_host_device_scalarIT2_EEPKS5_lS3_S8_PKS3_S6_PS5_21rocsparse_index_base_b.uses_vcc, 1
	.set _ZN9rocsparseL12gemvi_kernelILj1024ELj64Ei21rocsparse_complex_numIdEEEvT1_S3_NS_24const_host_device_scalarIT2_EEPKS5_lS3_S8_PKS3_S6_PS5_21rocsparse_index_base_b.uses_flat_scratch, 0
	.set _ZN9rocsparseL12gemvi_kernelILj1024ELj64Ei21rocsparse_complex_numIdEEEvT1_S3_NS_24const_host_device_scalarIT2_EEPKS5_lS3_S8_PKS3_S6_PS5_21rocsparse_index_base_b.has_dyn_sized_stack, 0
	.set _ZN9rocsparseL12gemvi_kernelILj1024ELj64Ei21rocsparse_complex_numIdEEEvT1_S3_NS_24const_host_device_scalarIT2_EEPKS5_lS3_S8_PKS3_S6_PS5_21rocsparse_index_base_b.has_recursion, 0
	.set _ZN9rocsparseL12gemvi_kernelILj1024ELj64Ei21rocsparse_complex_numIdEEEvT1_S3_NS_24const_host_device_scalarIT2_EEPKS5_lS3_S8_PKS3_S6_PS5_21rocsparse_index_base_b.has_indirect_call, 0
	.section	.AMDGPU.csdata,"",@progbits
; Kernel info:
; codeLenInByte = 1108
; TotalNumSgprs: 24
; NumVgprs: 30
; ScratchSize: 0
; MemoryBound: 0
; FloatMode: 240
; IeeeMode: 1
; LDSByteSize: 16384 bytes/workgroup (compile time only)
; SGPRBlocks: 8
; VGPRBlocks: 7
; NumSGPRsForWavesPerEU: 65
; NumVGPRsForWavesPerEU: 30
; Occupancy: 8
; WaveLimiterHint : 1
; COMPUTE_PGM_RSRC2:SCRATCH_EN: 0
; COMPUTE_PGM_RSRC2:USER_SGPR: 6
; COMPUTE_PGM_RSRC2:TRAP_HANDLER: 0
; COMPUTE_PGM_RSRC2:TGID_X_EN: 1
; COMPUTE_PGM_RSRC2:TGID_Y_EN: 0
; COMPUTE_PGM_RSRC2:TGID_Z_EN: 0
; COMPUTE_PGM_RSRC2:TIDIG_COMP_CNT: 0
	.section	.AMDGPU.gpr_maximums,"",@progbits
	.set amdgpu.max_num_vgpr, 0
	.set amdgpu.max_num_agpr, 0
	.set amdgpu.max_num_sgpr, 0
	.section	.AMDGPU.csdata,"",@progbits
	.type	__hip_cuid_9199aa8bf5ca35e7,@object ; @__hip_cuid_9199aa8bf5ca35e7
	.section	.bss,"aw",@nobits
	.globl	__hip_cuid_9199aa8bf5ca35e7
__hip_cuid_9199aa8bf5ca35e7:
	.byte	0                               ; 0x0
	.size	__hip_cuid_9199aa8bf5ca35e7, 1

	.ident	"AMD clang version 22.0.0git (https://github.com/RadeonOpenCompute/llvm-project roc-7.2.4 26084 f58b06dce1f9c15707c5f808fd002e18c2accf7e)"
	.section	".note.GNU-stack","",@progbits
	.addrsig
	.addrsig_sym __hip_cuid_9199aa8bf5ca35e7
	.amdgpu_metadata
---
amdhsa.kernels:
  - .args:
      - .offset:         0
        .size:           4
        .value_kind:     by_value
      - .offset:         4
        .size:           4
        .value_kind:     by_value
      - .offset:         8
        .size:           8
        .value_kind:     by_value
      - .actual_access:  read_only
        .address_space:  global
        .offset:         16
        .size:           8
        .value_kind:     global_buffer
      - .offset:         24
        .size:           8
        .value_kind:     by_value
      - .offset:         32
        .size:           4
        .value_kind:     by_value
      - .actual_access:  read_only
        .address_space:  global
        .offset:         40
        .size:           8
        .value_kind:     global_buffer
      - .actual_access:  read_only
        .address_space:  global
        .offset:         48
        .size:           8
        .value_kind:     global_buffer
      - .offset:         56
        .size:           8
        .value_kind:     by_value
      - .address_space:  global
        .offset:         64
        .size:           8
        .value_kind:     global_buffer
      - .offset:         72
        .size:           4
        .value_kind:     by_value
      - .offset:         76
        .size:           1
        .value_kind:     by_value
    .group_segment_fixed_size: 4096
    .kernarg_segment_align: 8
    .kernarg_segment_size: 80
    .language:       OpenCL C
    .language_version:
      - 2
      - 0
    .max_flat_workgroup_size: 1024
    .name:           _ZN9rocsparseL12gemvi_kernelILj1024ELj32EifEEvT1_S1_NS_24const_host_device_scalarIT2_EEPKS3_lS1_S6_PKS1_S4_PS3_21rocsparse_index_base_b
    .private_segment_fixed_size: 0
    .sgpr_count:     28
    .sgpr_spill_count: 0
    .symbol:         _ZN9rocsparseL12gemvi_kernelILj1024ELj32EifEEvT1_S1_NS_24const_host_device_scalarIT2_EEPKS3_lS1_S6_PKS1_S4_PS3_21rocsparse_index_base_b.kd
    .uniform_work_group_size: 1
    .uses_dynamic_stack: false
    .vgpr_count:     16
    .vgpr_spill_count: 0
    .wavefront_size: 64
  - .args:
      - .offset:         0
        .size:           4
        .value_kind:     by_value
      - .offset:         4
        .size:           4
        .value_kind:     by_value
      - .offset:         8
        .size:           8
        .value_kind:     by_value
      - .actual_access:  read_only
        .address_space:  global
        .offset:         16
        .size:           8
        .value_kind:     global_buffer
      - .offset:         24
        .size:           8
        .value_kind:     by_value
      - .offset:         32
        .size:           4
        .value_kind:     by_value
      - .actual_access:  read_only
        .address_space:  global
        .offset:         40
        .size:           8
        .value_kind:     global_buffer
      - .actual_access:  read_only
        .address_space:  global
        .offset:         48
        .size:           8
        .value_kind:     global_buffer
      - .offset:         56
        .size:           8
        .value_kind:     by_value
      - .address_space:  global
        .offset:         64
        .size:           8
        .value_kind:     global_buffer
      - .offset:         72
        .size:           4
        .value_kind:     by_value
      - .offset:         76
        .size:           1
        .value_kind:     by_value
    .group_segment_fixed_size: 4096
    .kernarg_segment_align: 8
    .kernarg_segment_size: 80
    .language:       OpenCL C
    .language_version:
      - 2
      - 0
    .max_flat_workgroup_size: 1024
    .name:           _ZN9rocsparseL12gemvi_kernelILj1024ELj64EifEEvT1_S1_NS_24const_host_device_scalarIT2_EEPKS3_lS1_S6_PKS1_S4_PS3_21rocsparse_index_base_b
    .private_segment_fixed_size: 0
    .sgpr_count:     24
    .sgpr_spill_count: 0
    .symbol:         _ZN9rocsparseL12gemvi_kernelILj1024ELj64EifEEvT1_S1_NS_24const_host_device_scalarIT2_EEPKS3_lS1_S6_PKS1_S4_PS3_21rocsparse_index_base_b.kd
    .uniform_work_group_size: 1
    .uses_dynamic_stack: false
    .vgpr_count:     16
    .vgpr_spill_count: 0
    .wavefront_size: 64
  - .args:
      - .offset:         0
        .size:           4
        .value_kind:     by_value
      - .offset:         4
        .size:           4
        .value_kind:     by_value
      - .offset:         8
        .size:           8
        .value_kind:     by_value
      - .actual_access:  read_only
        .address_space:  global
        .offset:         16
        .size:           8
        .value_kind:     global_buffer
      - .offset:         24
        .size:           8
        .value_kind:     by_value
      - .offset:         32
        .size:           4
        .value_kind:     by_value
      - .actual_access:  read_only
        .address_space:  global
        .offset:         40
        .size:           8
        .value_kind:     global_buffer
      - .actual_access:  read_only
        .address_space:  global
        .offset:         48
        .size:           8
        .value_kind:     global_buffer
      - .offset:         56
        .size:           8
        .value_kind:     by_value
      - .address_space:  global
        .offset:         64
        .size:           8
        .value_kind:     global_buffer
      - .offset:         72
        .size:           4
        .value_kind:     by_value
      - .offset:         76
        .size:           1
        .value_kind:     by_value
    .group_segment_fixed_size: 8192
    .kernarg_segment_align: 8
    .kernarg_segment_size: 80
    .language:       OpenCL C
    .language_version:
      - 2
      - 0
    .max_flat_workgroup_size: 1024
    .name:           _ZN9rocsparseL12gemvi_kernelILj1024ELj32EidEEvT1_S1_NS_24const_host_device_scalarIT2_EEPKS3_lS1_S6_PKS1_S4_PS3_21rocsparse_index_base_b
    .private_segment_fixed_size: 0
    .sgpr_count:     24
    .sgpr_spill_count: 0
    .symbol:         _ZN9rocsparseL12gemvi_kernelILj1024ELj32EidEEvT1_S1_NS_24const_host_device_scalarIT2_EEPKS3_lS1_S6_PKS1_S4_PS3_21rocsparse_index_base_b.kd
    .uniform_work_group_size: 1
    .uses_dynamic_stack: false
    .vgpr_count:     22
    .vgpr_spill_count: 0
    .wavefront_size: 64
  - .args:
      - .offset:         0
        .size:           4
        .value_kind:     by_value
      - .offset:         4
        .size:           4
        .value_kind:     by_value
      - .offset:         8
        .size:           8
        .value_kind:     by_value
      - .actual_access:  read_only
        .address_space:  global
        .offset:         16
        .size:           8
        .value_kind:     global_buffer
      - .offset:         24
        .size:           8
        .value_kind:     by_value
      - .offset:         32
        .size:           4
        .value_kind:     by_value
      - .actual_access:  read_only
        .address_space:  global
        .offset:         40
        .size:           8
        .value_kind:     global_buffer
      - .actual_access:  read_only
        .address_space:  global
        .offset:         48
        .size:           8
        .value_kind:     global_buffer
      - .offset:         56
        .size:           8
        .value_kind:     by_value
      - .address_space:  global
        .offset:         64
        .size:           8
        .value_kind:     global_buffer
      - .offset:         72
        .size:           4
        .value_kind:     by_value
      - .offset:         76
        .size:           1
        .value_kind:     by_value
    .group_segment_fixed_size: 8192
    .kernarg_segment_align: 8
    .kernarg_segment_size: 80
    .language:       OpenCL C
    .language_version:
      - 2
      - 0
    .max_flat_workgroup_size: 1024
    .name:           _ZN9rocsparseL12gemvi_kernelILj1024ELj64EidEEvT1_S1_NS_24const_host_device_scalarIT2_EEPKS3_lS1_S6_PKS1_S4_PS3_21rocsparse_index_base_b
    .private_segment_fixed_size: 0
    .sgpr_count:     24
    .sgpr_spill_count: 0
    .symbol:         _ZN9rocsparseL12gemvi_kernelILj1024ELj64EidEEvT1_S1_NS_24const_host_device_scalarIT2_EEPKS3_lS1_S6_PKS1_S4_PS3_21rocsparse_index_base_b.kd
    .uniform_work_group_size: 1
    .uses_dynamic_stack: false
    .vgpr_count:     22
    .vgpr_spill_count: 0
    .wavefront_size: 64
  - .args:
      - .offset:         0
        .size:           4
        .value_kind:     by_value
      - .offset:         4
        .size:           4
        .value_kind:     by_value
      - .offset:         8
        .size:           8
        .value_kind:     by_value
      - .actual_access:  read_only
        .address_space:  global
        .offset:         16
        .size:           8
        .value_kind:     global_buffer
      - .offset:         24
        .size:           8
        .value_kind:     by_value
      - .offset:         32
        .size:           4
        .value_kind:     by_value
      - .actual_access:  read_only
        .address_space:  global
        .offset:         40
        .size:           8
        .value_kind:     global_buffer
      - .actual_access:  read_only
        .address_space:  global
        .offset:         48
        .size:           8
        .value_kind:     global_buffer
      - .offset:         56
        .size:           8
        .value_kind:     by_value
      - .address_space:  global
        .offset:         64
        .size:           8
        .value_kind:     global_buffer
      - .offset:         72
        .size:           4
        .value_kind:     by_value
      - .offset:         76
        .size:           1
        .value_kind:     by_value
    .group_segment_fixed_size: 8192
    .kernarg_segment_align: 8
    .kernarg_segment_size: 80
    .language:       OpenCL C
    .language_version:
      - 2
      - 0
    .max_flat_workgroup_size: 1024
    .name:           _ZN9rocsparseL12gemvi_kernelILj1024ELj32Ei21rocsparse_complex_numIfEEEvT1_S3_NS_24const_host_device_scalarIT2_EEPKS5_lS3_S8_PKS3_S6_PS5_21rocsparse_index_base_b
    .private_segment_fixed_size: 0
    .sgpr_count:     24
    .sgpr_spill_count: 0
    .symbol:         _ZN9rocsparseL12gemvi_kernelILj1024ELj32Ei21rocsparse_complex_numIfEEEvT1_S3_NS_24const_host_device_scalarIT2_EEPKS5_lS3_S8_PKS3_S6_PS5_21rocsparse_index_base_b.kd
    .uniform_work_group_size: 1
    .uses_dynamic_stack: false
    .vgpr_count:     22
    .vgpr_spill_count: 0
    .wavefront_size: 64
  - .args:
      - .offset:         0
        .size:           4
        .value_kind:     by_value
      - .offset:         4
        .size:           4
        .value_kind:     by_value
      - .offset:         8
        .size:           8
        .value_kind:     by_value
      - .actual_access:  read_only
        .address_space:  global
        .offset:         16
        .size:           8
        .value_kind:     global_buffer
      - .offset:         24
        .size:           8
        .value_kind:     by_value
      - .offset:         32
        .size:           4
        .value_kind:     by_value
      - .actual_access:  read_only
        .address_space:  global
        .offset:         40
        .size:           8
        .value_kind:     global_buffer
      - .actual_access:  read_only
        .address_space:  global
        .offset:         48
        .size:           8
        .value_kind:     global_buffer
      - .offset:         56
        .size:           8
        .value_kind:     by_value
      - .address_space:  global
        .offset:         64
        .size:           8
        .value_kind:     global_buffer
      - .offset:         72
        .size:           4
        .value_kind:     by_value
      - .offset:         76
        .size:           1
        .value_kind:     by_value
    .group_segment_fixed_size: 8192
    .kernarg_segment_align: 8
    .kernarg_segment_size: 80
    .language:       OpenCL C
    .language_version:
      - 2
      - 0
    .max_flat_workgroup_size: 1024
    .name:           _ZN9rocsparseL12gemvi_kernelILj1024ELj64Ei21rocsparse_complex_numIfEEEvT1_S3_NS_24const_host_device_scalarIT2_EEPKS5_lS3_S8_PKS3_S6_PS5_21rocsparse_index_base_b
    .private_segment_fixed_size: 0
    .sgpr_count:     24
    .sgpr_spill_count: 0
    .symbol:         _ZN9rocsparseL12gemvi_kernelILj1024ELj64Ei21rocsparse_complex_numIfEEEvT1_S3_NS_24const_host_device_scalarIT2_EEPKS5_lS3_S8_PKS3_S6_PS5_21rocsparse_index_base_b.kd
    .uniform_work_group_size: 1
    .uses_dynamic_stack: false
    .vgpr_count:     22
    .vgpr_spill_count: 0
    .wavefront_size: 64
  - .args:
      - .offset:         0
        .size:           4
        .value_kind:     by_value
      - .offset:         4
        .size:           4
        .value_kind:     by_value
      - .offset:         8
        .size:           16
        .value_kind:     by_value
      - .actual_access:  read_only
        .address_space:  global
        .offset:         24
        .size:           8
        .value_kind:     global_buffer
      - .offset:         32
        .size:           8
        .value_kind:     by_value
      - .offset:         40
        .size:           4
        .value_kind:     by_value
      - .actual_access:  read_only
        .address_space:  global
        .offset:         48
        .size:           8
        .value_kind:     global_buffer
      - .actual_access:  read_only
        .address_space:  global
        .offset:         56
        .size:           8
        .value_kind:     global_buffer
      - .offset:         64
        .size:           16
        .value_kind:     by_value
      - .address_space:  global
        .offset:         80
        .size:           8
        .value_kind:     global_buffer
      - .offset:         88
        .size:           4
        .value_kind:     by_value
      - .offset:         92
        .size:           1
        .value_kind:     by_value
    .group_segment_fixed_size: 16384
    .kernarg_segment_align: 8
    .kernarg_segment_size: 96
    .language:       OpenCL C
    .language_version:
      - 2
      - 0
    .max_flat_workgroup_size: 1024
    .name:           _ZN9rocsparseL12gemvi_kernelILj1024ELj32Ei21rocsparse_complex_numIdEEEvT1_S3_NS_24const_host_device_scalarIT2_EEPKS5_lS3_S8_PKS3_S6_PS5_21rocsparse_index_base_b
    .private_segment_fixed_size: 0
    .sgpr_count:     24
    .sgpr_spill_count: 0
    .symbol:         _ZN9rocsparseL12gemvi_kernelILj1024ELj32Ei21rocsparse_complex_numIdEEEvT1_S3_NS_24const_host_device_scalarIT2_EEPKS5_lS3_S8_PKS3_S6_PS5_21rocsparse_index_base_b.kd
    .uniform_work_group_size: 1
    .uses_dynamic_stack: false
    .vgpr_count:     30
    .vgpr_spill_count: 0
    .wavefront_size: 64
  - .args:
      - .offset:         0
        .size:           4
        .value_kind:     by_value
      - .offset:         4
        .size:           4
        .value_kind:     by_value
      - .offset:         8
        .size:           16
        .value_kind:     by_value
      - .actual_access:  read_only
        .address_space:  global
        .offset:         24
        .size:           8
        .value_kind:     global_buffer
      - .offset:         32
        .size:           8
        .value_kind:     by_value
      - .offset:         40
        .size:           4
        .value_kind:     by_value
      - .actual_access:  read_only
        .address_space:  global
        .offset:         48
        .size:           8
        .value_kind:     global_buffer
      - .actual_access:  read_only
        .address_space:  global
        .offset:         56
        .size:           8
        .value_kind:     global_buffer
      - .offset:         64
        .size:           16
        .value_kind:     by_value
      - .address_space:  global
        .offset:         80
        .size:           8
        .value_kind:     global_buffer
      - .offset:         88
        .size:           4
        .value_kind:     by_value
      - .offset:         92
        .size:           1
        .value_kind:     by_value
    .group_segment_fixed_size: 16384
    .kernarg_segment_align: 8
    .kernarg_segment_size: 96
    .language:       OpenCL C
    .language_version:
      - 2
      - 0
    .max_flat_workgroup_size: 1024
    .name:           _ZN9rocsparseL12gemvi_kernelILj1024ELj64Ei21rocsparse_complex_numIdEEEvT1_S3_NS_24const_host_device_scalarIT2_EEPKS5_lS3_S8_PKS3_S6_PS5_21rocsparse_index_base_b
    .private_segment_fixed_size: 0
    .sgpr_count:     24
    .sgpr_spill_count: 0
    .symbol:         _ZN9rocsparseL12gemvi_kernelILj1024ELj64Ei21rocsparse_complex_numIdEEEvT1_S3_NS_24const_host_device_scalarIT2_EEPKS5_lS3_S8_PKS3_S6_PS5_21rocsparse_index_base_b.kd
    .uniform_work_group_size: 1
    .uses_dynamic_stack: false
    .vgpr_count:     30
    .vgpr_spill_count: 0
    .wavefront_size: 64
amdhsa.target:   amdgcn-amd-amdhsa--gfx906
amdhsa.version:
  - 1
  - 2
...

	.end_amdgpu_metadata
